;; amdgpu-corpus repo=ROCm/rocFFT kind=compiled arch=gfx950 opt=O3
	.text
	.amdgcn_target "amdgcn-amd-amdhsa--gfx950"
	.amdhsa_code_object_version 6
	.protected	bluestein_single_fwd_len1666_dim1_dp_op_CI_CI ; -- Begin function bluestein_single_fwd_len1666_dim1_dp_op_CI_CI
	.globl	bluestein_single_fwd_len1666_dim1_dp_op_CI_CI
	.p2align	8
	.type	bluestein_single_fwd_len1666_dim1_dp_op_CI_CI,@function
bluestein_single_fwd_len1666_dim1_dp_op_CI_CI: ; @bluestein_single_fwd_len1666_dim1_dp_op_CI_CI
; %bb.0:
	s_load_dwordx4 s[8:11], s[0:1], 0x28
	v_mul_u32_u24_e32 v1, 0x227, v0
	v_mov_b32_e32 v247, 0
	v_add_u32_sdwa v2, s2, v1 dst_sel:DWORD dst_unused:UNUSED_PAD src0_sel:DWORD src1_sel:WORD_1
	v_mov_b32_e32 v3, v247
	v_accvgpr_write_b32 a2, v2
	s_waitcnt lgkmcnt(0)
	v_cmp_gt_u64_e32 vcc, s[8:9], v[2:3]
	s_and_saveexec_b64 s[2:3], vcc
	s_cbranch_execz .LBB0_15
; %bb.1:
	s_load_dwordx2 s[8:9], s[0:1], 0x0
	s_load_dwordx2 s[12:13], s[0:1], 0x38
	s_movk_i32 s2, 0x77
	v_mul_lo_u16_sdwa v1, v1, s2 dst_sel:DWORD dst_unused:UNUSED_PAD src0_sel:WORD_1 src1_sel:DWORD
	v_sub_u16_e32 v246, v0, v1
	s_movk_i32 s2, 0x62
	v_cmp_gt_u16_e64 s[2:3], s2, v246
	v_lshlrev_b32_e32 v244, 4, v246
	s_and_saveexec_b64 s[14:15], s[2:3]
	s_cbranch_execz .LBB0_3
; %bb.2:
	s_load_dwordx2 s[4:5], s[0:1], 0x18
	v_accvgpr_read_b32 v10, a2
	v_mov_b32_e32 v0, s10
	v_mov_b32_e32 v1, s11
	;; [unrolled: 1-line block ×3, first 2 shown]
	s_waitcnt lgkmcnt(0)
	s_load_dwordx4 s[4:7], s[4:5], 0x0
	v_lshl_add_u64 v[136:137], s[8:9], 0, v[244:245]
	v_mov_b32_e32 v18, 0x620
	s_waitcnt lgkmcnt(0)
	v_mad_u64_u32 v[2:3], s[10:11], s6, v10, 0
	v_mad_u64_u32 v[4:5], s[10:11], s4, v246, 0
	v_mov_b32_e32 v6, v3
	v_mov_b32_e32 v8, v5
	v_mad_u64_u32 v[6:7], s[6:7], s7, v10, v[6:7]
	v_mov_b32_e32 v3, v6
	v_mad_u64_u32 v[6:7], s[6:7], s5, v246, v[8:9]
	s_movk_i32 s6, 0x1000
	s_nop 0
	v_add_co_u32_e32 v52, vcc, s6, v136
	s_movk_i32 s7, 0x2000
	s_nop 0
	v_addc_co_u32_e32 v53, vcc, 0, v137, vcc
	v_mov_b32_e32 v5, v6
	v_lshl_add_u64 v[0:1], v[2:3], 4, v[0:1]
	v_add_co_u32_e32 v54, vcc, s7, v136
	v_lshl_add_u64 v[16:17], v[4:5], 4, v[0:1]
	s_movk_i32 s10, 0x3000
	v_addc_co_u32_e32 v55, vcc, 0, v137, vcc
	global_load_dwordx4 v[0:3], v[16:17], off
	global_load_dwordx4 v[4:7], v244, s[8:9]
	v_add_co_u32_e32 v56, vcc, s10, v136
	s_mul_i32 s10, s5, 0x620
	v_mad_u64_u32 v[16:17], s[6:7], s4, v18, v[16:17]
	v_add_u32_e32 v17, s10, v17
	v_mad_u64_u32 v[60:61], s[6:7], s4, v18, v[16:17]
	v_addc_co_u32_e32 v57, vcc, 0, v137, vcc
	v_add_u32_e32 v61, s10, v61
	global_load_dwordx4 v[8:11], v244, s[8:9] offset:1568
	global_load_dwordx4 v[12:15], v244, s[8:9] offset:3136
	global_load_dwordx4 v[20:23], v[52:53], off offset:608
	global_load_dwordx4 v[24:27], v[52:53], off offset:2176
	;; [unrolled: 1-line block ×8, first 2 shown]
	s_nop 0
	global_load_dwordx4 v[52:55], v[16:17], off
	global_load_dwordx4 v[56:59], v[60:61], off
	v_mad_u64_u32 v[16:17], s[6:7], s4, v18, v[60:61]
	v_add_u32_e32 v17, s10, v17
	v_mad_u64_u32 v[68:69], s[6:7], s4, v18, v[16:17]
	v_add_u32_e32 v69, s10, v69
	global_load_dwordx4 v[60:63], v[16:17], off
	global_load_dwordx4 v[64:67], v[68:69], off
	v_mad_u64_u32 v[16:17], s[6:7], s4, v18, v[68:69]
	v_add_u32_e32 v17, s10, v17
	global_load_dwordx4 v[68:71], v[16:17], off
	v_mad_u64_u32 v[16:17], s[6:7], s4, v18, v[16:17]
	v_add_u32_e32 v17, s10, v17
	global_load_dwordx4 v[72:75], v[16:17], off
	v_mad_u64_u32 v[16:17], s[6:7], s4, v18, v[16:17]
	v_add_u32_e32 v17, s10, v17
	global_load_dwordx4 v[76:79], v[16:17], off
	v_mad_u64_u32 v[16:17], s[6:7], s4, v18, v[16:17]
	v_add_u32_e32 v17, s10, v17
	global_load_dwordx4 v[80:83], v[16:17], off
	v_mad_u64_u32 v[16:17], s[6:7], s4, v18, v[16:17]
	v_add_u32_e32 v17, s10, v17
	global_load_dwordx4 v[84:87], v[16:17], off
	v_mad_u64_u32 v[16:17], s[6:7], s4, v18, v[16:17]
	v_add_u32_e32 v17, s10, v17
	v_mad_u64_u32 v[96:97], s[6:7], s4, v18, v[16:17]
	v_add_u32_e32 v97, s10, v97
	global_load_dwordx4 v[88:91], v[16:17], off
	v_mad_u64_u32 v[108:109], s[6:7], s4, v18, v[96:97]
	s_movk_i32 s11, 0x4000
	v_add_u32_e32 v109, s10, v109
	global_load_dwordx4 v[92:95], v[96:97], off
	v_add_co_u32_e32 v116, vcc, s11, v136
	v_mad_u64_u32 v[112:113], s[6:7], s4, v18, v[108:109]
	s_nop 0
	v_addc_co_u32_e32 v117, vcc, 0, v137, vcc
	global_load_dwordx4 v[96:99], v[108:109], off
	global_load_dwordx4 v[100:103], v[116:117], off offset:864
	global_load_dwordx4 v[104:107], v[116:117], off offset:2432
	v_add_u32_e32 v113, s10, v113
	v_mad_u64_u32 v[124:125], s[6:7], s4, v18, v[112:113]
	v_add_u32_e32 v125, s10, v125
	s_movk_i32 s5, 0x5000
	global_load_dwordx4 v[108:111], v[112:113], off
	v_add_co_u32_e32 v128, vcc, s5, v136
	v_mad_u64_u32 v[132:133], s[6:7], s4, v18, v[124:125]
	global_load_dwordx4 v[112:115], v[124:125], off
	v_addc_co_u32_e32 v129, vcc, 0, v137, vcc
	global_load_dwordx4 v[116:119], v[116:117], off offset:4000
	s_nop 0
	global_load_dwordx4 v[120:123], v[128:129], off offset:1472
	v_add_u32_e32 v133, s10, v133
	v_mad_u64_u32 v[18:19], s[4:5], s4, v18, v[132:133]
	v_add_u32_e32 v19, s10, v19
	s_movk_i32 s4, 0x6000
	global_load_dwordx4 v[124:127], v[132:133], off
	s_nop 0
	global_load_dwordx4 v[128:131], v[128:129], off offset:3040
	s_waitcnt vmcnt(30)
	v_mul_f64 v[16:17], v[2:3], v[6:7]
	global_load_dwordx4 v[132:135], v[18:19], off
	v_add_co_u32_e32 v18, vcc, s4, v136
	v_fmac_f64_e32 v[16:17], v[0:1], v[4:5]
	s_nop 0
	v_addc_co_u32_e32 v19, vcc, 0, v137, vcc
	global_load_dwordx4 v[136:139], v[18:19], off offset:512
	v_mul_f64 v[0:1], v[0:1], v[6:7]
	v_fma_f64 v[18:19], v[2:3], v[4:5], -v[0:1]
	ds_write_b128 v244, v[16:19]
	s_waitcnt vmcnt(21)
	v_mul_f64 v[0:1], v[54:55], v[10:11]
	v_mul_f64 v[2:3], v[52:53], v[10:11]
	v_fmac_f64_e32 v[0:1], v[52:53], v[8:9]
	v_fma_f64 v[2:3], v[54:55], v[8:9], -v[2:3]
	ds_write_b128 v244, v[0:3] offset:1568
	s_waitcnt vmcnt(20)
	v_mul_f64 v[0:1], v[58:59], v[14:15]
	v_mul_f64 v[2:3], v[56:57], v[14:15]
	v_fmac_f64_e32 v[0:1], v[56:57], v[12:13]
	v_fma_f64 v[2:3], v[58:59], v[12:13], -v[2:3]
	ds_write_b128 v244, v[0:3] offset:3136
	;; [unrolled: 6-line block ×16, first 2 shown]
.LBB0_3:
	s_or_b64 exec, exec, s[14:15]
	s_load_dwordx2 s[4:5], s[0:1], 0x20
	s_load_dwordx2 s[10:11], s[0:1], 0x8
	s_waitcnt lgkmcnt(0)
	s_barrier
	s_waitcnt lgkmcnt(0)
                                        ; implicit-def: $vgpr12_vgpr13
                                        ; implicit-def: $vgpr16_vgpr17
                                        ; implicit-def: $vgpr20_vgpr21
                                        ; implicit-def: $vgpr24_vgpr25
                                        ; implicit-def: $vgpr28_vgpr29
                                        ; implicit-def: $vgpr32_vgpr33
                                        ; implicit-def: $vgpr36_vgpr37
                                        ; implicit-def: $vgpr40_vgpr41
                                        ; implicit-def: $vgpr44_vgpr45
                                        ; implicit-def: $vgpr48_vgpr49
                                        ; implicit-def: $vgpr52_vgpr53
                                        ; implicit-def: $vgpr56_vgpr57
                                        ; implicit-def: $vgpr60_vgpr61
                                        ; implicit-def: $vgpr64_vgpr65
                                        ; implicit-def: $vgpr68_vgpr69
                                        ; implicit-def: $vgpr72_vgpr73
                                        ; implicit-def: $vgpr76_vgpr77
	s_and_saveexec_b64 s[0:1], s[2:3]
	s_cbranch_execz .LBB0_5
; %bb.4:
	ds_read_b128 v[12:15], v244
	ds_read_b128 v[16:19], v244 offset:1568
	ds_read_b128 v[20:23], v244 offset:3136
	;; [unrolled: 1-line block ×16, first 2 shown]
.LBB0_5:
	s_or_b64 exec, exec, s[0:1]
	s_mov_b32 s36, 0x5d8e7cdc
	s_waitcnt lgkmcnt(0)
	v_add_f64 v[112:113], v[18:19], -v[78:79]
	s_mov_b32 s0, 0x370991
	s_mov_b32 s37, 0xbfd71e95
	;; [unrolled: 1-line block ×3, first 2 shown]
	v_add_f64 v[138:139], v[16:17], v[76:77]
	v_add_f64 v[116:117], v[16:17], -v[76:77]
	s_mov_b32 s1, 0x3fedd6d0
	v_mul_f64 v[88:89], v[112:113], s[36:37]
	s_mov_b32 s14, 0x75d4884
	s_mov_b32 s29, 0xbfe58eea
	v_add_f64 v[114:115], v[22:23], -v[74:75]
	v_add_f64 v[140:141], v[18:19], v[78:79]
	v_mul_f64 v[90:91], v[116:117], s[36:37]
	v_fma_f64 v[0:1], s[0:1], v[138:139], v[88:89]
	s_mov_b32 s15, 0x3fe7a5f6
	s_mov_b32 s30, 0x7c9e640b
	v_add_f64 v[146:147], v[20:21], v[72:73]
	v_add_f64 v[118:119], v[20:21], -v[72:73]
	v_mul_f64 v[92:93], v[114:115], s[28:29]
	v_add_f64 v[0:1], v[12:13], v[0:1]
	v_fma_f64 v[2:3], v[140:141], s[0:1], -v[90:91]
	s_mov_b32 s6, 0x2b2883cd
	s_mov_b32 s31, 0xbfeca52d
	v_add_f64 v[148:149], v[22:23], v[74:75]
	v_mul_f64 v[94:95], v[118:119], s[28:29]
	v_fma_f64 v[4:5], s[14:15], v[146:147], v[92:93]
	v_add_f64 v[218:219], v[26:27], -v[70:71]
	v_add_f64 v[2:3], v[14:15], v[2:3]
	s_mov_b32 s7, 0x3fdc86fa
	v_add_f64 v[0:1], v[4:5], v[0:1]
	v_fma_f64 v[4:5], v[148:149], s[14:15], -v[94:95]
	s_mov_b32 s34, 0xeb564b22
	v_add_f64 v[154:155], v[24:25], v[68:69]
	v_add_f64 v[206:207], v[24:25], -v[68:69]
	v_mul_f64 v[96:97], v[218:219], s[30:31]
	v_add_f64 v[2:3], v[4:5], v[2:3]
	s_mov_b32 s20, 0x3259b75e
	s_mov_b32 s35, 0xbfefdd0d
	v_add_f64 v[156:157], v[26:27], v[70:71]
	v_mul_f64 v[98:99], v[206:207], s[30:31]
	v_fma_f64 v[4:5], s[6:7], v[154:155], v[96:97]
	v_add_f64 v[222:223], v[30:31], -v[66:67]
	s_mov_b32 s21, 0x3fb79ee6
	v_add_f64 v[0:1], v[4:5], v[0:1]
	v_fma_f64 v[4:5], v[156:157], s[6:7], -v[98:99]
	v_add_f64 v[160:161], v[28:29], v[64:65]
	v_add_f64 v[216:217], v[28:29], -v[64:65]
	v_mul_f64 v[100:101], v[222:223], s[34:35]
	s_mov_b32 s42, 0x923c349f
	v_add_f64 v[2:3], v[4:5], v[2:3]
	v_add_f64 v[162:163], v[30:31], v[66:67]
	v_mul_f64 v[102:103], v[216:217], s[34:35]
	v_fma_f64 v[4:5], s[20:21], v[160:161], v[100:101]
	s_mov_b32 s24, 0xc61f0d01
	s_mov_b32 s43, 0x3feec746
	v_add_f64 v[226:227], v[34:35], -v[62:63]
	s_mov_b32 s49, 0xbfeec746
	s_mov_b32 s48, s42
	s_mov_b32 s40, 0x6c9a05f6
	v_add_f64 v[0:1], v[4:5], v[0:1]
	v_fma_f64 v[4:5], v[162:163], s[20:21], -v[102:103]
	s_mov_b32 s25, 0xbfd183b1
	v_add_f64 v[166:167], v[32:33], v[60:61]
	v_add_f64 v[224:225], v[32:33], -v[60:61]
	v_mul_f64 v[104:105], v[226:227], s[48:49]
	s_mov_b32 s16, 0x6ed5f1bb
	s_mov_b32 s41, 0xbfe9895b
	v_add_f64 v[2:3], v[4:5], v[2:3]
	v_add_f64 v[168:169], v[34:35], v[62:63]
	v_mul_f64 v[106:107], v[224:225], s[48:49]
	v_fma_f64 v[4:5], s[24:25], v[166:167], v[104:105]
	v_add_f64 v[234:235], v[38:39], -v[58:59]
	s_mov_b32 s17, 0xbfe348c8
	v_add_f64 v[0:1], v[4:5], v[0:1]
	v_fma_f64 v[4:5], v[168:169], s[24:25], -v[106:107]
	s_mov_b32 s50, 0x4363dd80
	v_add_f64 v[176:177], v[36:37], v[56:57]
	v_add_f64 v[230:231], v[36:37], -v[56:57]
	v_mul_f64 v[108:109], v[234:235], s[40:41]
	v_add_f64 v[2:3], v[4:5], v[2:3]
	s_mov_b32 s26, 0x910ea3b9
	s_mov_b32 s51, 0x3fe0d888
	v_add_f64 v[178:179], v[38:39], v[58:59]
	v_mul_f64 v[110:111], v[230:231], s[40:41]
	v_fma_f64 v[4:5], s[16:17], v[176:177], v[108:109]
	v_add_f64 v[242:243], v[42:43], -v[54:55]
	s_mov_b32 s47, 0xbfe0d888
	s_mov_b32 s46, s50
	s_mov_b32 s44, 0xacd6c6b4
	s_mov_b32 s27, 0xbfeb34fa
	v_add_f64 v[0:1], v[4:5], v[0:1]
	v_fma_f64 v[4:5], v[178:179], s[16:17], -v[110:111]
	v_add_f64 v[180:181], v[40:41], v[52:53]
	v_add_f64 v[238:239], v[40:41], -v[52:53]
	v_mul_f64 v[128:129], v[242:243], s[46:47]
	s_mov_b32 s18, 0x7faef3
	s_mov_b32 s45, 0x3fc7851a
	;; [unrolled: 1-line block ×4, first 2 shown]
	v_add_f64 v[2:3], v[4:5], v[2:3]
	v_add_f64 v[182:183], v[42:43], v[54:55]
	v_mul_f64 v[130:131], v[238:239], s[46:47]
	v_fma_f64 v[4:5], s[26:27], v[180:181], v[128:129]
	v_add_f64 v[122:123], v[46:47], -v[50:51]
	s_mov_b32 s19, 0xbfef7484
	v_add_f64 v[0:1], v[4:5], v[0:1]
	v_fma_f64 v[4:5], v[182:183], s[26:27], -v[130:131]
	v_add_f64 v[190:191], v[44:45], v[48:49]
	v_mul_f64 v[132:133], v[122:123], s[38:39]
	v_add_f64 v[120:121], v[44:45], -v[48:49]
	v_add_f64 v[2:3], v[4:5], v[2:3]
	v_fma_f64 v[4:5], s[18:19], v[190:191], v[132:133]
	v_add_f64 v[200:201], v[46:47], v[50:51]
	v_mul_f64 v[170:171], v[120:121], s[38:39]
	v_add_f64 v[4:5], v[4:5], v[0:1]
	v_fma_f64 v[0:1], v[200:201], s[18:19], -v[170:171]
	v_mul_f64 v[172:173], v[112:113], s[28:29]
	v_add_f64 v[6:7], v[0:1], v[2:3]
	v_fma_f64 v[0:1], s[14:15], v[138:139], v[172:173]
	v_mul_f64 v[174:175], v[114:115], s[34:35]
	v_add_f64 v[0:1], v[12:13], v[0:1]
	v_fma_f64 v[2:3], s[20:21], v[146:147], v[174:175]
	v_mul_f64 v[188:189], v[116:117], s[28:29]
	v_accvgpr_write_b32 a4, v4
	v_add_f64 v[0:1], v[2:3], v[0:1]
	v_fma_f64 v[2:3], v[140:141], s[14:15], -v[188:189]
	v_mul_f64 v[192:193], v[118:119], s[34:35]
	v_accvgpr_write_b32 a5, v5
	v_accvgpr_write_b32 a6, v6
	;; [unrolled: 1-line block ×3, first 2 shown]
	v_add_f64 v[2:3], v[14:15], v[2:3]
	v_fma_f64 v[4:5], v[148:149], s[20:21], -v[192:193]
	v_mul_f64 v[184:185], v[218:219], s[40:41]
	v_add_f64 v[2:3], v[4:5], v[2:3]
	v_fma_f64 v[4:5], s[16:17], v[154:155], v[184:185]
	v_mul_f64 v[196:197], v[206:207], s[40:41]
	v_add_f64 v[0:1], v[4:5], v[0:1]
	v_fma_f64 v[4:5], v[156:157], s[16:17], -v[196:197]
	v_mul_f64 v[186:187], v[222:223], s[38:39]
	v_add_f64 v[2:3], v[4:5], v[2:3]
	v_fma_f64 v[4:5], s[18:19], v[160:161], v[186:187]
	v_mul_f64 v[204:205], v[216:217], s[38:39]
	;; [unrolled: 6-line block ×4, first 2 shown]
	s_mov_b32 s57, 0x3feca52d
	s_mov_b32 s56, s30
	v_add_f64 v[0:1], v[4:5], v[0:1]
	v_fma_f64 v[4:5], v[178:179], s[24:25], -v[212:213]
	v_mul_f64 v[8:9], v[242:243], s[56:57]
	v_add_f64 v[2:3], v[4:5], v[2:3]
	v_fma_f64 v[4:5], s[6:7], v[180:181], v[8:9]
	v_mul_f64 v[214:215], v[238:239], s[56:57]
	s_mov_b32 s53, 0x3fd71e95
	s_mov_b32 s52, s36
	v_add_f64 v[0:1], v[4:5], v[0:1]
	v_fma_f64 v[4:5], v[182:183], s[6:7], -v[214:215]
	v_mul_f64 v[208:209], v[122:123], s[52:53]
	v_add_f64 v[2:3], v[4:5], v[2:3]
	v_fma_f64 v[4:5], s[0:1], v[190:191], v[208:209]
	v_mul_f64 v[220:221], v[120:121], s[52:53]
	v_add_f64 v[4:5], v[4:5], v[0:1]
	v_fma_f64 v[0:1], v[200:201], s[0:1], -v[220:221]
	v_mul_f64 v[228:229], v[112:113], s[30:31]
	v_add_f64 v[6:7], v[0:1], v[2:3]
	v_fma_f64 v[0:1], s[6:7], v[138:139], v[228:229]
	v_mul_f64 v[232:233], v[114:115], s[40:41]
	v_add_f64 v[0:1], v[12:13], v[0:1]
	v_fma_f64 v[2:3], s[16:17], v[146:147], v[232:233]
	v_mul_f64 v[248:249], v[116:117], s[30:31]
	v_accvgpr_write_b32 a11, v7
	v_add_f64 v[0:1], v[2:3], v[0:1]
	v_fma_f64 v[2:3], v[140:141], s[6:7], -v[248:249]
	v_mul_f64 v[126:127], v[118:119], s[40:41]
	v_accvgpr_write_b32 a10, v6
	v_accvgpr_write_b32 a9, v5
	;; [unrolled: 1-line block ×3, first 2 shown]
	v_add_f64 v[2:3], v[14:15], v[2:3]
	v_fma_f64 v[4:5], v[148:149], s[16:17], -v[126:127]
	v_mul_f64 v[236:237], v[218:219], s[44:45]
	v_add_f64 v[2:3], v[4:5], v[2:3]
	v_fma_f64 v[4:5], s[18:19], v[154:155], v[236:237]
	v_add_f64 v[4:5], v[4:5], v[0:1]
	v_mul_f64 v[0:1], v[206:207], s[44:45]
	v_fma_f64 v[6:7], v[156:157], s[18:19], -v[0:1]
	v_mul_f64 v[240:241], v[222:223], s[42:43]
	v_add_f64 v[6:7], v[6:7], v[2:3]
	v_fma_f64 v[2:3], s[24:25], v[160:161], v[240:241]
	v_add_f64 v[4:5], v[2:3], v[4:5]
	v_mul_f64 v[2:3], v[216:217], s[42:43]
	s_mov_b32 s55, 0x3fe58eea
	s_mov_b32 s54, s28
	v_fma_f64 v[10:11], v[162:163], s[24:25], -v[2:3]
	v_mul_f64 v[250:251], v[226:227], s[54:55]
	v_add_f64 v[6:7], v[10:11], v[6:7]
	v_fma_f64 v[10:11], s[14:15], v[166:167], v[250:251]
	v_add_f64 v[10:11], v[10:11], v[4:5]
	v_mul_f64 v[4:5], v[224:225], s[54:55]
	v_fma_f64 v[80:81], v[168:169], s[14:15], -v[4:5]
	v_mul_f64 v[252:253], v[234:235], s[36:37]
	v_add_f64 v[80:81], v[80:81], v[6:7]
	v_fma_f64 v[6:7], s[0:1], v[176:177], v[252:253]
	v_add_f64 v[10:11], v[6:7], v[10:11]
	v_mul_f64 v[6:7], v[230:231], s[36:37]
	;; [unrolled: 6-line block ×3, first 2 shown]
	v_fma_f64 v[84:85], v[182:183], s[20:21], -v[10:11]
	v_mul_f64 v[124:125], v[122:123], s[46:47]
	v_add_f64 v[80:81], v[84:85], v[80:81]
	v_fma_f64 v[84:85], s[26:27], v[190:191], v[124:125]
	v_mul_f64 v[202:203], v[120:121], s[46:47]
	v_add_f64 v[84:85], v[84:85], v[82:83]
	v_fma_f64 v[82:83], v[200:201], s[26:27], -v[202:203]
	v_add_f64 v[86:87], v[82:83], v[80:81]
	v_accvgpr_write_b32 a12, v84
	v_accvgpr_write_b32 a13, v85
	;; [unrolled: 1-line block ×4, first 2 shown]
	s_barrier
	s_and_saveexec_b64 s[22:23], s[2:3]
	s_cbranch_execz .LBB0_7
; %bb.6:
	v_accvgpr_write_b32 a20, v88
	v_accvgpr_write_b32 a21, v89
	v_mul_f64 v[88:89], v[140:141], s[18:19]
	v_mul_f64 v[86:87], v[148:149], s[0:1]
	v_fma_f64 v[82:83], s[44:45], v[116:117], v[88:89]
	v_mul_f64 v[84:85], v[156:157], s[26:27]
	v_fma_f64 v[80:81], s[36:37], v[118:119], v[86:87]
	v_add_f64 v[82:83], v[14:15], v[82:83]
	v_accvgpr_write_b32 a26, v90
	v_add_f64 v[80:81], v[80:81], v[82:83]
	v_fma_f64 v[82:83], s[50:51], v[206:207], v[84:85]
	v_accvgpr_write_b32 a27, v91
	v_mul_f64 v[90:91], v[162:163], s[14:15]
	v_accvgpr_write_b32 a22, v92
	v_add_f64 v[80:81], v[82:83], v[80:81]
	v_fma_f64 v[82:83], s[28:29], v[216:217], v[90:91]
	s_mov_b32 s59, 0x3fe9895b
	s_mov_b32 s58, s40
	v_accvgpr_write_b32 a23, v93
	v_mul_f64 v[92:93], v[168:169], s[16:17]
	v_accvgpr_write_b32 a32, v94
	v_add_f64 v[80:81], v[82:83], v[80:81]
	v_fma_f64 v[82:83], s[58:59], v[224:225], v[92:93]
	v_accvgpr_write_b32 a33, v95
	v_mul_f64 v[94:95], v[178:179], s[6:7]
	v_accvgpr_write_b32 a24, v96
	v_add_f64 v[80:81], v[82:83], v[80:81]
	v_fma_f64 v[82:83], s[30:31], v[230:231], v[94:95]
	;; [unrolled: 5-line block ×4, first 2 shown]
	v_accvgpr_write_b32 a35, v101
	v_mul_f64 v[100:101], v[114:115], s[52:53]
	v_accvgpr_write_b32 a42, v102
	v_add_f64 v[82:83], v[12:13], v[82:83]
	v_accvgpr_write_b32 a43, v103
	v_fma_f64 v[102:103], s[0:1], v[146:147], v[100:101]
	v_add_f64 v[82:83], v[102:103], v[82:83]
	v_mul_f64 v[102:103], v[218:219], s[46:47]
	v_accvgpr_write_b32 a36, v104
	v_accvgpr_write_b32 a37, v105
	v_fma_f64 v[104:105], s[26:27], v[154:155], v[102:103]
	v_add_f64 v[82:83], v[104:105], v[82:83]
	v_mul_f64 v[104:105], v[222:223], s[54:55]
	v_accvgpr_write_b32 a46, v106
	;; [unrolled: 5-line block ×3, first 2 shown]
	v_accvgpr_write_b32 a39, v109
	v_fma_f64 v[108:109], s[16:17], v[166:167], v[106:107]
	v_fmac_f64_e32 v[88:89], s[38:39], v[116:117]
	v_add_f64 v[82:83], v[108:109], v[82:83]
	v_mul_f64 v[108:109], v[234:235], s[56:57]
	v_accvgpr_write_b32 a48, v110
	v_fmac_f64_e32 v[86:87], s[52:53], v[118:119]
	v_add_f64 v[88:89], v[14:15], v[88:89]
	v_accvgpr_write_b32 a49, v111
	v_fma_f64 v[110:111], s[6:7], v[176:177], v[108:109]
	v_add_f64 v[86:87], v[86:87], v[88:89]
	v_fmac_f64_e32 v[84:85], s[46:47], v[206:207]
	v_fma_f64 v[88:89], v[138:139], s[18:19], -v[98:99]
	v_add_f64 v[82:83], v[110:111], v[82:83]
	v_mul_f64 v[110:111], v[242:243], s[48:49]
	v_accvgpr_write_b32 a0, v246
	v_accvgpr_write_b32 a44, v128
	v_add_f64 v[84:85], v[84:85], v[86:87]
	v_fma_f64 v[86:87], v[146:147], s[0:1], -v[100:101]
	v_add_f64 v[88:89], v[12:13], v[88:89]
	v_accvgpr_write_b32 a1, v247
	v_fma_f64 v[246:247], s[24:25], v[180:181], v[110:111]
	v_accvgpr_write_b32 a45, v129
	v_mul_f64 v[128:129], v[200:201], s[20:21]
	s_mov_b32 s61, 0x3fefdd0d
	s_mov_b32 s60, s34
	v_accvgpr_write_b32 a50, v130
	v_fmac_f64_e32 v[90:91], s[54:55], v[216:217]
	v_add_f64 v[86:87], v[86:87], v[88:89]
	v_fma_f64 v[88:89], v[154:155], s[26:27], -v[102:103]
	v_add_f64 v[246:247], v[246:247], v[82:83]
	v_fma_f64 v[82:83], s[34:35], v[120:121], v[128:129]
	v_accvgpr_write_b32 a51, v131
	v_mul_f64 v[130:131], v[122:123], s[60:61]
	v_add_f64 v[84:85], v[90:91], v[84:85]
	v_fmac_f64_e32 v[92:93], s[40:41], v[224:225]
	v_add_f64 v[86:87], v[88:89], v[86:87]
	v_fma_f64 v[88:89], v[160:161], s[14:15], -v[104:105]
	v_add_f64 v[82:83], v[82:83], v[80:81]
	v_fma_f64 v[80:81], s[20:21], v[190:191], v[130:131]
	v_add_f64 v[84:85], v[92:93], v[84:85]
	v_fmac_f64_e32 v[94:95], s[56:57], v[230:231]
	v_add_f64 v[86:87], v[88:89], v[86:87]
	v_fma_f64 v[88:89], v[166:167], s[16:17], -v[106:107]
	v_add_f64 v[80:81], v[80:81], v[246:247]
	v_add_f64 v[84:85], v[94:95], v[84:85]
	v_fmac_f64_e32 v[96:97], s[48:49], v[238:239]
	v_add_f64 v[86:87], v[88:89], v[86:87]
	v_fma_f64 v[88:89], v[176:177], s[6:7], -v[108:109]
	v_accvgpr_write_b32 a16, v80
	v_add_f64 v[84:85], v[96:97], v[84:85]
	v_add_f64 v[86:87], v[88:89], v[86:87]
	v_fma_f64 v[88:89], v[180:181], s[24:25], -v[110:111]
	v_fmac_f64_e32 v[128:129], s[60:61], v[120:121]
	v_accvgpr_write_b32 a17, v81
	v_accvgpr_write_b32 a18, v82
	;; [unrolled: 1-line block ×3, first 2 shown]
	v_add_f64 v[88:89], v[88:89], v[86:87]
	v_add_f64 v[82:83], v[128:129], v[84:85]
	v_fma_f64 v[84:85], v[190:191], s[20:21], -v[130:131]
	v_mul_f64 v[92:93], v[140:141], s[26:27]
	v_add_f64 v[80:81], v[84:85], v[88:89]
	v_fma_f64 v[88:89], s[50:51], v[116:117], v[92:93]
	v_mul_f64 v[94:95], v[148:149], s[6:7]
	v_add_f64 v[88:89], v[14:15], v[88:89]
	v_fma_f64 v[90:91], s[30:31], v[118:119], v[94:95]
	;; [unrolled: 3-line block ×9, first 2 shown]
	v_add_f64 v[90:91], v[110:111], v[90:91]
	v_mul_f64 v[110:111], v[218:219], s[34:35]
	v_fma_f64 v[128:129], s[20:21], v[154:155], v[110:111]
	v_fmac_f64_e32 v[92:93], s[46:47], v[116:117]
	v_add_f64 v[90:91], v[128:129], v[90:91]
	v_mul_f64 v[128:129], v[222:223], s[58:59]
	v_fmac_f64_e32 v[94:95], s[56:57], v[118:119]
	v_add_f64 v[92:93], v[14:15], v[92:93]
	v_fma_f64 v[130:131], s[16:17], v[160:161], v[128:129]
	v_add_f64 v[92:93], v[94:95], v[92:93]
	v_fmac_f64_e32 v[96:97], s[34:35], v[206:207]
	v_add_f64 v[90:91], v[130:131], v[90:91]
	v_mul_f64 v[130:131], v[226:227], s[36:37]
	v_add_f64 v[92:93], v[96:97], v[92:93]
	v_fma_f64 v[96:97], v[138:139], s[26:27], -v[106:107]
	v_fma_f64 v[246:247], s[0:1], v[166:167], v[130:131]
	v_fma_f64 v[94:95], v[146:147], s[6:7], -v[108:109]
	v_add_f64 v[96:97], v[12:13], v[96:97]
	v_add_f64 v[90:91], v[246:247], v[90:91]
	v_mul_f64 v[246:247], v[234:235], s[38:39]
	v_accvgpr_write_b32 a52, v132
	v_fmac_f64_e32 v[98:99], s[58:59], v[216:217]
	v_add_f64 v[94:95], v[94:95], v[96:97]
	v_fma_f64 v[96:97], v[154:155], s[20:21], -v[110:111]
	v_accvgpr_write_b32 a53, v133
	v_fma_f64 v[132:133], s[18:19], v[176:177], v[246:247]
	v_add_f64 v[92:93], v[98:99], v[92:93]
	v_fmac_f64_e32 v[100:101], s[36:37], v[224:225]
	v_add_f64 v[94:95], v[96:97], v[94:95]
	v_fma_f64 v[96:97], v[160:161], s[16:17], -v[128:129]
	v_add_f64 v[90:91], v[132:133], v[90:91]
	v_mul_f64 v[132:133], v[242:243], s[54:55]
	v_add_f64 v[92:93], v[100:101], v[92:93]
	v_fmac_f64_e32 v[102:103], s[38:39], v[230:231]
	v_add_f64 v[94:95], v[96:97], v[94:95]
	v_fma_f64 v[96:97], v[166:167], s[0:1], -v[130:131]
	v_fma_f64 v[134:135], s[14:15], v[180:181], v[132:133]
	v_mul_f64 v[136:137], v[200:201], s[24:25]
	v_add_f64 v[92:93], v[102:103], v[92:93]
	v_fmac_f64_e32 v[104:105], s[54:55], v[238:239]
	v_add_f64 v[94:95], v[96:97], v[94:95]
	v_fma_f64 v[96:97], v[176:177], s[18:19], -v[246:247]
	v_add_f64 v[134:135], v[134:135], v[90:91]
	v_fma_f64 v[90:91], s[42:43], v[120:121], v[136:137]
	v_mul_f64 v[142:143], v[122:123], s[48:49]
	v_add_f64 v[92:93], v[104:105], v[92:93]
	v_add_f64 v[94:95], v[96:97], v[94:95]
	v_fma_f64 v[96:97], v[180:181], s[14:15], -v[132:133]
	v_fmac_f64_e32 v[136:137], s[48:49], v[120:121]
	v_add_f64 v[96:97], v[96:97], v[94:95]
	v_add_f64 v[94:95], v[136:137], v[92:93]
	v_fma_f64 v[92:93], v[190:191], s[24:25], -v[142:143]
	v_mul_f64 v[100:101], v[140:141], s[16:17]
	v_add_f64 v[92:93], v[92:93], v[96:97]
	v_fma_f64 v[96:97], s[58:59], v[116:117], v[100:101]
	v_mul_f64 v[102:103], v[148:149], s[24:25]
	v_add_f64 v[96:97], v[14:15], v[96:97]
	v_fma_f64 v[98:99], s[48:49], v[118:119], v[102:103]
	;; [unrolled: 3-line block ×8, first 2 shown]
	v_add_f64 v[96:97], v[98:99], v[96:97]
	v_fma_f64 v[98:99], s[16:17], v[138:139], v[130:131]
	v_mul_f64 v[132:133], v[114:115], s[42:43]
	v_add_f64 v[88:89], v[88:89], v[134:135]
	v_add_f64 v[98:99], v[12:13], v[98:99]
	v_fma_f64 v[134:135], s[24:25], v[146:147], v[132:133]
	v_add_f64 v[98:99], v[134:135], v[98:99]
	v_mul_f64 v[134:135], v[218:219], s[36:37]
	v_fma_f64 v[136:137], s[0:1], v[154:155], v[134:135]
	v_add_f64 v[98:99], v[136:137], v[98:99]
	v_mul_f64 v[136:137], v[222:223], s[46:47]
	;; [unrolled: 3-line block ×3, first 2 shown]
	v_fma_f64 v[246:247], s[20:21], v[166:167], v[142:143]
	v_accvgpr_write_b32 a28, v80
	v_add_f64 v[98:99], v[246:247], v[98:99]
	v_mul_f64 v[246:247], v[234:235], s[28:29]
	v_accvgpr_write_b32 a29, v81
	v_accvgpr_write_b32 a30, v82
	;; [unrolled: 1-line block ×3, first 2 shown]
	v_fma_f64 v[80:81], s[14:15], v[176:177], v[246:247]
	v_mul_f64 v[82:83], v[242:243], s[38:39]
	v_add_f64 v[80:81], v[80:81], v[98:99]
	v_fma_f64 v[98:99], s[18:19], v[180:181], v[82:83]
	v_mul_f64 v[144:145], v[200:201], s[6:7]
	v_add_f64 v[80:81], v[98:99], v[80:81]
	;; [unrolled: 3-line block ×3, first 2 shown]
	v_fma_f64 v[96:97], s[6:7], v[190:191], v[150:151]
	v_fmac_f64_e32 v[100:101], s[40:41], v[116:117]
	v_add_f64 v[96:97], v[96:97], v[80:81]
	v_fmac_f64_e32 v[102:103], s[42:43], v[118:119]
	v_add_f64 v[80:81], v[14:15], v[100:101]
	v_add_f64 v[80:81], v[102:103], v[80:81]
	v_fma_f64 v[102:103], v[138:139], s[16:17], -v[130:131]
	v_fmac_f64_e32 v[104:105], s[36:37], v[206:207]
	v_fma_f64 v[100:101], v[146:147], s[24:25], -v[132:133]
	v_add_f64 v[102:103], v[12:13], v[102:103]
	v_add_f64 v[80:81], v[104:105], v[80:81]
	v_fmac_f64_e32 v[106:107], s[46:47], v[216:217]
	v_add_f64 v[100:101], v[100:101], v[102:103]
	v_fma_f64 v[102:103], v[154:155], s[0:1], -v[134:135]
	v_add_f64 v[80:81], v[106:107], v[80:81]
	v_fmac_f64_e32 v[108:109], s[60:61], v[224:225]
	v_add_f64 v[100:101], v[102:103], v[100:101]
	v_fma_f64 v[102:103], v[160:161], s[26:27], -v[136:137]
	;; [unrolled: 4-line block ×4, first 2 shown]
	v_add_f64 v[80:81], v[128:129], v[80:81]
	v_add_f64 v[100:101], v[102:103], v[100:101]
	v_fma_f64 v[82:83], v[180:181], s[18:19], -v[82:83]
	v_fmac_f64_e32 v[144:145], s[56:57], v[120:121]
	v_add_f64 v[82:83], v[82:83], v[100:101]
	v_add_f64 v[102:103], v[144:145], v[80:81]
	v_fma_f64 v[80:81], v[190:191], s[6:7], -v[150:151]
	v_add_f64 v[100:101], v[80:81], v[82:83]
	v_mul_f64 v[80:81], v[140:141], s[24:25]
	v_fma_f64 v[82:83], s[42:43], v[116:117], v[80:81]
	v_mul_f64 v[108:109], v[148:149], s[26:27]
	v_add_f64 v[82:83], v[14:15], v[82:83]
	v_fma_f64 v[104:105], s[46:47], v[118:119], v[108:109]
	v_mul_f64 v[110:111], v[156:157], s[14:15]
	v_add_f64 v[82:83], v[104:105], v[82:83]
	;; [unrolled: 3-line block ×14, first 2 shown]
	v_fma_f64 v[106:107], s[58:59], v[120:121], v[164:165]
	v_add_f64 v[106:107], v[106:107], v[82:83]
	v_mul_f64 v[82:83], v[122:123], s[40:41]
	v_fmac_f64_e32 v[80:81], s[48:49], v[116:117]
	v_fma_f64 v[84:85], s[16:17], v[190:191], v[82:83]
	v_fmac_f64_e32 v[108:109], s[50:51], v[118:119]
	v_add_f64 v[80:81], v[14:15], v[80:81]
	v_fma_f64 v[86:87], v[138:139], s[24:25], -v[136:137]
	v_add_f64 v[104:105], v[84:85], v[104:105]
	v_add_f64 v[80:81], v[108:109], v[80:81]
	v_fmac_f64_e32 v[110:111], s[54:55], v[206:207]
	v_fma_f64 v[84:85], v[146:147], s[26:27], -v[142:143]
	v_add_f64 v[86:87], v[12:13], v[86:87]
	v_add_f64 v[80:81], v[110:111], v[80:81]
	v_fmac_f64_e32 v[128:129], s[30:31], v[216:217]
	v_add_f64 v[84:85], v[84:85], v[86:87]
	v_fma_f64 v[86:87], v[154:155], s[14:15], -v[144:145]
	v_add_f64 v[80:81], v[128:129], v[80:81]
	v_fmac_f64_e32 v[130:131], s[38:39], v[224:225]
	v_add_f64 v[84:85], v[86:87], v[84:85]
	v_fma_f64 v[86:87], v[160:161], s[6:7], -v[150:151]
	;; [unrolled: 4-line block ×4, first 2 shown]
	v_add_f64 v[80:81], v[134:135], v[80:81]
	v_add_f64 v[84:85], v[86:87], v[84:85]
	v_fma_f64 v[86:87], v[180:181], s[0:1], -v[158:159]
	v_fmac_f64_e32 v[164:165], s[40:41], v[120:121]
	v_add_f64 v[84:85], v[86:87], v[84:85]
	v_add_f64 v[110:111], v[164:165], v[80:81]
	v_fma_f64 v[80:81], v[190:191], s[16:17], -v[82:83]
	v_add_f64 v[108:109], v[80:81], v[84:85]
	v_mul_f64 v[80:81], v[140:141], s[20:21]
	v_fma_f64 v[82:83], s[60:61], v[116:117], v[80:81]
	v_mul_f64 v[84:85], v[148:149], s[18:19]
	v_add_f64 v[82:83], v[14:15], v[82:83]
	v_fma_f64 v[86:87], s[44:45], v[118:119], v[84:85]
	v_add_f64 v[82:83], v[86:87], v[82:83]
	v_mul_f64 v[86:87], v[156:157], s[24:25]
	v_fma_f64 v[128:129], s[48:49], v[206:207], v[86:87]
	v_add_f64 v[82:83], v[128:129], v[82:83]
	v_mul_f64 v[128:129], v[162:163], s[0:1]
	;; [unrolled: 3-line block ×5, first 2 shown]
	v_fma_f64 v[136:137], s[40:41], v[238:239], v[134:135]
	v_mul_f64 v[142:143], v[112:113], s[34:35]
	v_add_f64 v[82:83], v[136:137], v[82:83]
	v_mul_f64 v[136:137], v[114:115], s[38:39]
	v_fma_f64 v[112:113], s[20:21], v[138:139], v[142:143]
	v_add_f64 v[112:113], v[12:13], v[112:113]
	v_fma_f64 v[114:115], s[18:19], v[146:147], v[136:137]
	v_mul_f64 v[144:145], v[218:219], s[42:43]
	v_fmac_f64_e32 v[80:81], s[34:35], v[116:117]
	v_add_f64 v[112:113], v[114:115], v[112:113]
	v_fma_f64 v[114:115], s[24:25], v[154:155], v[144:145]
	v_mul_f64 v[150:151], v[222:223], s[52:53]
	v_fmac_f64_e32 v[84:85], s[38:39], v[118:119]
	v_add_f64 v[80:81], v[14:15], v[80:81]
	v_add_f64 v[112:113], v[114:115], v[112:113]
	v_fma_f64 v[114:115], s[0:1], v[160:161], v[150:151]
	v_mul_f64 v[152:153], v[226:227], s[30:31]
	v_fmac_f64_e32 v[86:87], s[42:43], v[206:207]
	v_add_f64 v[80:81], v[84:85], v[80:81]
	;; [unrolled: 5-line block ×4, first 2 shown]
	v_fma_f64 v[86:87], v[138:139], s[20:21], -v[142:143]
	v_add_f64 v[112:113], v[114:115], v[112:113]
	v_fma_f64 v[114:115], s[16:17], v[180:181], v[164:165]
	v_mul_f64 v[218:219], v[200:201], s[14:15]
	v_fmac_f64_e32 v[132:133], s[46:47], v[230:231]
	v_add_f64 v[80:81], v[130:131], v[80:81]
	v_fma_f64 v[84:85], v[146:147], s[18:19], -v[136:137]
	v_add_f64 v[86:87], v[12:13], v[86:87]
	v_add_f64 v[112:113], v[114:115], v[112:113]
	v_fma_f64 v[114:115], s[28:29], v[120:121], v[218:219]
	v_fmac_f64_e32 v[134:135], s[58:59], v[238:239]
	v_add_f64 v[80:81], v[132:133], v[80:81]
	v_add_f64 v[84:85], v[84:85], v[86:87]
	v_fma_f64 v[86:87], v[154:155], s[24:25], -v[144:145]
	v_add_f64 v[114:115], v[114:115], v[82:83]
	v_mul_f64 v[82:83], v[122:123], s[54:55]
	v_fmac_f64_e32 v[218:219], s[54:55], v[120:121]
	v_add_f64 v[80:81], v[134:135], v[80:81]
	v_add_f64 v[84:85], v[86:87], v[84:85]
	v_fma_f64 v[86:87], v[160:161], s[0:1], -v[150:151]
	v_fma_f64 v[122:123], s[14:15], v[190:191], v[82:83]
	v_add_f64 v[84:85], v[86:87], v[84:85]
	v_fma_f64 v[86:87], v[166:167], s[6:7], -v[152:153]
	v_add_f64 v[118:119], v[218:219], v[80:81]
	v_fma_f64 v[80:81], v[190:191], s[14:15], -v[82:83]
	v_mul_f64 v[82:83], v[182:183], s[20:21]
	v_add_f64 v[84:85], v[86:87], v[84:85]
	v_fma_f64 v[86:87], v[176:177], s[26:27], -v[158:159]
	v_add_f64 v[10:11], v[10:11], v[82:83]
	v_mul_f64 v[82:83], v[178:179], s[0:1]
	v_add_f64 v[84:85], v[86:87], v[84:85]
	v_fma_f64 v[86:87], v[180:181], s[16:17], -v[164:165]
	v_add_f64 v[6:7], v[6:7], v[82:83]
	v_mul_f64 v[82:83], v[168:169], s[14:15]
	v_add_f64 v[84:85], v[86:87], v[84:85]
	v_add_f64 v[4:5], v[4:5], v[82:83]
	v_mul_f64 v[82:83], v[162:163], s[24:25]
	v_add_f64 v[116:117], v[80:81], v[84:85]
	v_add_f64 v[2:3], v[2:3], v[82:83]
	v_mul_f64 v[82:83], v[156:157], s[18:19]
	v_mul_f64 v[84:85], v[140:141], s[6:7]
	v_add_f64 v[0:1], v[0:1], v[82:83]
	v_mul_f64 v[82:83], v[148:149], s[16:17]
	v_add_f64 v[84:85], v[248:249], v[84:85]
	v_add_f64 v[82:83], v[126:127], v[82:83]
	;; [unrolled: 1-line block ×6, first 2 shown]
	v_mul_f64 v[122:123], v[138:139], s[6:7]
	v_add_f64 v[0:1], v[2:3], v[0:1]
	v_mul_f64 v[2:3], v[146:147], s[16:17]
	v_add_f64 v[122:123], v[122:123], -v[228:229]
	v_mul_f64 v[136:137], v[154:155], s[18:19]
	v_add_f64 v[2:3], v[2:3], -v[232:233]
	v_add_f64 v[122:123], v[12:13], v[122:123]
	v_mul_f64 v[120:121], v[140:141], s[14:15]
	v_add_f64 v[0:1], v[4:5], v[0:1]
	v_mul_f64 v[134:135], v[160:161], s[24:25]
	v_add_f64 v[136:137], v[136:137], -v[236:237]
	v_add_f64 v[2:3], v[2:3], v[122:123]
	v_add_f64 v[0:1], v[6:7], v[0:1]
	v_mul_f64 v[6:7], v[148:149], s[20:21]
	v_mul_f64 v[132:133], v[166:167], s[14:15]
	v_add_f64 v[134:135], v[134:135], -v[240:241]
	v_add_f64 v[2:3], v[136:137], v[2:3]
	v_add_f64 v[120:121], v[188:189], v[120:121]
	;; [unrolled: 1-line block ×3, first 2 shown]
	v_mul_f64 v[10:11], v[190:191], s[26:27]
	v_mul_f64 v[130:131], v[176:177], s[0:1]
	v_add_f64 v[132:133], v[132:133], -v[250:251]
	v_mul_f64 v[144:145], v[156:157], s[16:17]
	v_add_f64 v[2:3], v[134:135], v[2:3]
	v_add_f64 v[6:7], v[192:193], v[6:7]
	;; [unrolled: 1-line block ×3, first 2 shown]
	v_mul_f64 v[82:83], v[138:139], s[14:15]
	v_add_f64 v[10:11], v[10:11], -v[124:125]
	v_mul_f64 v[124:125], v[180:181], s[20:21]
	v_add_f64 v[130:131], v[130:131], -v[252:253]
	v_mul_f64 v[150:151], v[162:163], s[18:19]
	v_add_f64 v[2:3], v[132:133], v[2:3]
	v_add_f64 v[144:145], v[196:197], v[144:145]
	;; [unrolled: 1-line block ×3, first 2 shown]
	v_mul_f64 v[80:81], v[200:201], s[26:27]
	v_mul_f64 v[86:87], v[138:139], s[0:1]
	;; [unrolled: 1-line block ×3, first 2 shown]
	v_add_f64 v[124:125], v[124:125], -v[254:255]
	v_mul_f64 v[138:139], v[154:155], s[6:7]
	v_mul_f64 v[142:143], v[154:155], s[16:17]
	;; [unrolled: 1-line block ×3, first 2 shown]
	v_add_f64 v[2:3], v[130:131], v[2:3]
	v_add_f64 v[150:151], v[204:205], v[150:151]
	;; [unrolled: 1-line block ×3, first 2 shown]
	v_add_f64 v[82:83], v[82:83], -v[172:173]
	v_add_f64 v[80:81], v[202:203], v[80:81]
	v_mul_f64 v[158:159], v[178:179], s[24:25]
	v_add_f64 v[124:125], v[124:125], v[2:3]
	v_add_f64 v[154:155], v[210:211], v[154:155]
	;; [unrolled: 1-line block ×3, first 2 shown]
	v_add_f64 v[4:5], v[4:5], -v[174:175]
	v_add_f64 v[82:83], v[12:13], v[82:83]
	v_mul_f64 v[128:129], v[148:149], s[14:15]
	v_mul_f64 v[148:149], v[160:161], s[18:19]
	v_add_f64 v[2:3], v[80:81], v[0:1]
	v_add_f64 v[0:1], v[10:11], v[124:125]
	v_mul_f64 v[124:125], v[182:183], s[6:7]
	v_add_f64 v[158:159], v[212:213], v[158:159]
	v_add_f64 v[6:7], v[154:155], v[6:7]
	v_add_f64 v[142:143], v[142:143], -v[184:185]
	v_add_f64 v[4:5], v[4:5], v[82:83]
	v_mul_f64 v[152:153], v[166:167], s[26:27]
	v_add_f64 v[124:125], v[214:215], v[124:125]
	v_add_f64 v[6:7], v[158:159], v[6:7]
	v_add_f64 v[144:145], v[148:149], -v[186:187]
	v_add_f64 v[4:5], v[142:143], v[4:5]
	v_add_f64 v[6:7], v[124:125], v[6:7]
	v_add_f64 v[124:125], v[152:153], -v[194:195]
	v_add_f64 v[4:5], v[144:145], v[4:5]
	v_add_f64 v[4:5], v[124:125], v[4:5]
	v_accvgpr_read_b32 v125, a33
	v_accvgpr_read_b32 v124, a32
	v_add_f64 v[124:125], v[124:125], v[128:129]
	v_accvgpr_read_b32 v129, a27
	v_mul_f64 v[84:85], v[140:141], s[0:1]
	v_accvgpr_read_b32 v128, a26
	v_add_f64 v[84:85], v[128:129], v[84:85]
	v_add_f64 v[84:85], v[14:15], v[84:85]
	v_add_f64 v[84:85], v[124:125], v[84:85]
	v_accvgpr_read_b32 v125, a23
	v_mul_f64 v[126:127], v[146:147], s[14:15]
	v_accvgpr_read_b32 v124, a22
	v_add_f64 v[124:125], v[126:127], -v[124:125]
	v_accvgpr_read_b32 v127, a21
	v_accvgpr_read_b32 v126, a20
	v_mul_f64 v[140:141], v[156:157], s[6:7]
	v_mul_f64 v[156:157], v[176:177], s[24:25]
	v_mul_f64 v[80:81], v[180:181], s[6:7]
	v_add_f64 v[86:87], v[86:87], -v[126:127]
	v_add_f64 v[8:9], v[80:81], -v[8:9]
	;; [unrolled: 1-line block ×3, first 2 shown]
	v_add_f64 v[86:87], v[12:13], v[86:87]
	v_add_f64 v[14:15], v[14:15], v[18:19]
	;; [unrolled: 1-line block ×3, first 2 shown]
	v_mul_f64 v[134:135], v[168:169], s[24:25]
	v_mul_f64 v[168:169], v[190:191], s[0:1]
	v_add_f64 v[4:5], v[80:81], v[4:5]
	v_add_f64 v[14:15], v[14:15], v[22:23]
	;; [unrolled: 1-line block ×3, first 2 shown]
	v_add_f64 v[120:121], v[168:169], -v[208:209]
	v_add_f64 v[4:5], v[8:9], v[4:5]
	v_add_f64 v[14:15], v[14:15], v[26:27]
	;; [unrolled: 1-line block ×4, first 2 shown]
	v_accvgpr_read_b32 v121, a43
	v_add_f64 v[14:15], v[14:15], v[30:31]
	v_add_f64 v[12:13], v[12:13], v[28:29]
	v_mul_f64 v[122:123], v[162:163], s[20:21]
	v_accvgpr_read_b32 v120, a42
	v_add_f64 v[14:15], v[14:15], v[34:35]
	v_add_f64 v[12:13], v[12:13], v[32:33]
	;; [unrolled: 1-line block ×3, first 2 shown]
	v_accvgpr_read_b32 v123, a41
	v_add_f64 v[14:15], v[14:15], v[38:39]
	v_add_f64 v[12:13], v[12:13], v[36:37]
	v_accvgpr_read_b32 v81, a51
	v_accvgpr_read_b32 v122, a40
	v_add_f64 v[14:15], v[14:15], v[42:43]
	v_add_f64 v[12:13], v[12:13], v[40:41]
	v_mul_f64 v[10:11], v[182:183], s[26:27]
	v_accvgpr_read_b32 v80, a50
	v_accvgpr_read_b32 v83, a47
	v_add_f64 v[122:123], v[122:123], v[140:141]
	v_add_f64 v[14:15], v[14:15], v[46:47]
	;; [unrolled: 1-line block ×4, first 2 shown]
	v_accvgpr_read_b32 v81, a49
	v_accvgpr_read_b32 v82, a46
	v_add_f64 v[84:85], v[122:123], v[84:85]
	v_accvgpr_read_b32 v123, a25
	v_add_f64 v[14:15], v[14:15], v[50:51]
	v_add_f64 v[12:13], v[12:13], v[48:49]
	v_mul_f64 v[130:131], v[178:179], s[16:17]
	v_accvgpr_read_b32 v80, a48
	v_add_f64 v[82:83], v[82:83], v[134:135]
	v_add_f64 v[84:85], v[120:121], v[84:85]
	v_accvgpr_read_b32 v121, a35
	v_accvgpr_read_b32 v122, a24
	v_add_f64 v[14:15], v[14:15], v[54:55]
	v_add_f64 v[12:13], v[12:13], v[52:53]
	v_mul_f64 v[146:147], v[160:161], s[20:21]
	v_add_f64 v[80:81], v[80:81], v[130:131]
	v_add_f64 v[82:83], v[82:83], v[84:85]
	v_accvgpr_read_b32 v85, a37
	v_accvgpr_read_b32 v120, a34
	v_add_f64 v[122:123], v[138:139], -v[122:123]
	v_add_f64 v[86:87], v[124:125], v[86:87]
	v_add_f64 v[14:15], v[14:15], v[58:59]
	v_add_f64 v[12:13], v[12:13], v[56:57]
	v_mul_f64 v[136:137], v[166:167], s[24:25]
	v_mul_f64 v[166:167], v[200:201], s[18:19]
	v_add_f64 v[80:81], v[80:81], v[82:83]
	v_accvgpr_read_b32 v83, a39
	v_accvgpr_read_b32 v84, a36
	v_add_f64 v[120:121], v[146:147], -v[120:121]
	v_add_f64 v[86:87], v[122:123], v[86:87]
	v_add_f64 v[14:15], v[14:15], v[62:63]
	;; [unrolled: 1-line block ×3, first 2 shown]
	v_accvgpr_read_b32 v247, a1
	v_mul_f64 v[132:133], v[176:177], s[16:17]
	v_add_f64 v[8:9], v[170:171], v[166:167]
	v_add_f64 v[10:11], v[10:11], v[80:81]
	v_accvgpr_read_b32 v81, a45
	v_accvgpr_read_b32 v82, a38
	v_add_f64 v[84:85], v[136:137], -v[84:85]
	v_add_f64 v[86:87], v[120:121], v[86:87]
	v_add_f64 v[14:15], v[14:15], v[66:67]
	v_add_f64 v[12:13], v[12:13], v[64:65]
	v_accvgpr_read_b32 v246, a0
	v_mul_f64 v[160:161], v[180:181], s[26:27]
	v_add_f64 v[10:11], v[8:9], v[10:11]
	v_accvgpr_read_b32 v8, a52
	v_accvgpr_read_b32 v80, a44
	v_add_f64 v[82:83], v[132:133], -v[82:83]
	v_add_f64 v[84:85], v[84:85], v[86:87]
	v_add_f64 v[14:15], v[14:15], v[70:71]
	;; [unrolled: 1-line block ×3, first 2 shown]
	v_mul_f64 v[162:163], v[200:201], s[0:1]
	v_mul_f64 v[164:165], v[190:191], s[18:19]
	v_accvgpr_read_b32 v9, a53
	v_add_f64 v[80:81], v[160:161], -v[80:81]
	v_add_f64 v[82:83], v[82:83], v[84:85]
	v_add_f64 v[14:15], v[14:15], v[74:75]
	;; [unrolled: 1-line block ×3, first 2 shown]
	v_mul_lo_u16_e32 v16, 17, v246
	v_add_f64 v[162:163], v[220:221], v[162:163]
	v_add_f64 v[8:9], v[164:165], -v[8:9]
	v_add_f64 v[80:81], v[80:81], v[82:83]
	v_add_f64 v[14:15], v[14:15], v[78:79]
	;; [unrolled: 1-line block ×3, first 2 shown]
	v_lshlrev_b32_e32 v16, 4, v16
	v_add_f64 v[6:7], v[162:163], v[6:7]
	v_add_f64 v[8:9], v[8:9], v[80:81]
	ds_write_b128 v16, v[12:15]
	ds_write_b128 v16, v[8:11] offset:16
	ds_write_b128 v16, v[4:7] offset:32
	;; [unrolled: 1-line block ×16, first 2 shown]
.LBB0_7:
	s_or_b64 exec, exec, s[22:23]
	s_mov_b64 s[0:1], 0xee
	v_lshl_add_u64 v[0:1], v[246:247], 0, s[0:1]
	s_mov_b64 s[0:1], 0x165
	v_lshl_add_u64 v[4:5], v[246:247], 0, s[0:1]
	;; [unrolled: 2-line block ×5, first 2 shown]
	s_movk_i32 s0, 0xf1
	v_mul_lo_u16_sdwa v27, v246, s0 dst_sel:DWORD dst_unused:UNUSED_PAD src0_sel:BYTE_0 src1_sel:DWORD
	v_add_u16_e32 v2, 0x77, v246
	v_lshrrev_b16_e32 v36, 12, v27
	v_mul_lo_u16_sdwa v3, v2, s0 dst_sel:DWORD dst_unused:UNUSED_PAD src0_sel:BYTE_0 src1_sel:DWORD
	v_mul_lo_u16_e32 v1, 17, v36
	v_lshrrev_b16_e32 v38, 12, v3
	v_sub_u16_e32 v1, v246, v1
	v_mul_lo_u16_e32 v5, 17, v38
	v_and_b32_e32 v37, 0xff, v1
	v_sub_u16_e32 v5, v2, v5
	v_lshlrev_b32_e32 v1, 4, v37
	v_and_b32_e32 v39, 0xff, v5
	s_mov_b32 s0, 0xf0f1
	s_load_dwordx4 s[4:7], s[4:5], 0x0
	s_waitcnt lgkmcnt(0)
	s_barrier
	v_lshlrev_b32_e32 v5, 4, v39
	global_load_dwordx4 v[204:207], v1, s[10:11]
	global_load_dwordx4 v[200:203], v5, s[10:11]
	v_mul_u32_u24_sdwa v1, v0, s0 dst_sel:DWORD dst_unused:UNUSED_PAD src0_sel:WORD_0 src1_sel:DWORD
	v_lshrrev_b32_e32 v90, 20, v1
	v_mul_lo_u16_e32 v1, 17, v90
	v_sub_u16_e32 v91, v0, v1
	v_mul_u32_u24_sdwa v1, v4, s0 dst_sel:DWORD dst_unused:UNUSED_PAD src0_sel:WORD_0 src1_sel:DWORD
	v_lshrrev_b32_e32 v92, 20, v1
	v_mul_lo_u16_e32 v1, 17, v92
	v_lshlrev_b32_e32 v0, 4, v91
	v_sub_u16_e32 v93, v4, v1
	v_lshlrev_b32_e32 v1, 4, v93
	global_load_dwordx4 v[212:215], v0, s[10:11]
	global_load_dwordx4 v[208:211], v1, s[10:11]
	v_mul_u32_u24_sdwa v0, v6, s0 dst_sel:DWORD dst_unused:UNUSED_PAD src0_sel:WORD_0 src1_sel:DWORD
	v_lshrrev_b32_e32 v94, 20, v0
	v_mul_u32_u24_sdwa v1, v8, s0 dst_sel:DWORD dst_unused:UNUSED_PAD src0_sel:WORD_0 src1_sel:DWORD
	v_mul_lo_u16_e32 v0, 17, v94
	v_lshrrev_b32_e32 v96, 20, v1
	v_sub_u16_e32 v95, v6, v0
	v_mul_lo_u16_e32 v1, 17, v96
	v_lshlrev_b32_e32 v0, 4, v95
	v_sub_u16_e32 v97, v8, v1
	global_load_dwordx4 v[220:223], v0, s[10:11]
	v_lshlrev_b32_e32 v0, 4, v97
	global_load_dwordx4 v[216:219], v0, s[10:11]
	v_mul_u32_u24_sdwa v0, v10, s0 dst_sel:DWORD dst_unused:UNUSED_PAD src0_sel:WORD_0 src1_sel:DWORD
	v_lshrrev_b32_e32 v98, 20, v0
	v_mul_lo_u16_e32 v0, 17, v98
	v_sub_u16_e32 v99, v10, v0
	v_lshlrev_b32_e32 v0, 4, v99
	global_load_dwordx4 v[224:227], v0, s[10:11]
	v_mov_b32_e32 v0, 4
	v_lshlrev_b32_sdwa v26, v0, v246 dst_sel:DWORD dst_unused:UNUSED_PAD src0_sel:DWORD src1_sel:WORD_0
	ds_read_b128 v[4:7], v26 offset:13328
	ds_read_b128 v[8:11], v26
	ds_read_b128 v[12:15], v26 offset:1904
	ds_read_b128 v[16:19], v26 offset:15232
	ds_read_b128 v[20:23], v26 offset:17136
	ds_read_b128 v[40:43], v26 offset:3808
	ds_read_b128 v[44:47], v26 offset:5712
	ds_read_b128 v[48:51], v26 offset:19040
	ds_read_b128 v[52:55], v26 offset:20944
	ds_read_b128 v[56:59], v26 offset:7616
	ds_read_b128 v[60:63], v26 offset:9520
	ds_read_b128 v[64:67], v26 offset:11424
	ds_read_b128 v[68:71], v26 offset:22848
	ds_read_b128 v[72:75], v26 offset:24752
	s_waitcnt lgkmcnt(0)
	s_barrier
	s_movk_i32 s30, 0x60
	s_mov_b32 s16, 0xe976ee23
	s_mov_b32 s14, 0x429ad128
	;; [unrolled: 1-line block ×16, first 2 shown]
	s_waitcnt vmcnt(6)
	v_mul_f64 v[0:1], v[6:7], v[206:207]
	v_mul_f64 v[24:25], v[4:5], v[206:207]
	s_waitcnt vmcnt(5)
	v_mul_f64 v[28:29], v[18:19], v[202:203]
	v_fma_f64 v[0:1], v[4:5], v[204:205], -v[0:1]
	v_mul_f64 v[30:31], v[16:17], v[202:203]
	v_fma_f64 v[16:17], v[16:17], v[200:201], -v[28:29]
	v_fmac_f64_e32 v[24:25], v[6:7], v[204:205]
	v_fmac_f64_e32 v[30:31], v[18:19], v[200:201]
	v_add_f64 v[6:7], v[10:11], -v[24:25]
	v_add_f64 v[16:17], v[12:13], -v[16:17]
	;; [unrolled: 1-line block ×3, first 2 shown]
	s_waitcnt vmcnt(4)
	v_mul_f64 v[4:5], v[22:23], v[214:215]
	v_fma_f64 v[28:29], v[20:21], v[212:213], -v[4:5]
	s_waitcnt vmcnt(3)
	v_mul_f64 v[4:5], v[50:51], v[210:211]
	v_fma_f64 v[34:35], v[48:49], v[208:209], -v[4:5]
	v_mul_f64 v[76:77], v[48:49], v[210:211]
	v_fmac_f64_e32 v[76:77], v[50:51], v[208:209]
	v_add_f64 v[50:51], v[46:47], -v[76:77]
	v_mul_f64 v[32:33], v[20:21], v[214:215]
	v_fmac_f64_e32 v[32:33], v[22:23], v[212:213]
	v_add_f64 v[20:21], v[40:41], -v[28:29]
	v_add_f64 v[22:23], v[42:43], -v[32:33]
	s_waitcnt vmcnt(2)
	v_mul_f64 v[4:5], v[54:55], v[222:223]
	v_fma_f64 v[78:79], v[52:53], v[220:221], -v[4:5]
	s_waitcnt vmcnt(1)
	v_mul_f64 v[4:5], v[70:71], v[218:219]
	v_fma_f64 v[82:83], v[68:69], v[216:217], -v[4:5]
	v_mul_f64 v[80:81], v[52:53], v[222:223]
	v_fmac_f64_e32 v[80:81], v[54:55], v[220:221]
	v_add_f64 v[52:53], v[56:57], -v[78:79]
	v_add_f64 v[48:49], v[44:45], -v[34:35]
	s_waitcnt vmcnt(0)
	v_mul_f64 v[4:5], v[74:75], v[226:227]
	v_fma_f64 v[86:87], v[72:73], v[224:225], -v[4:5]
	v_add_f64 v[4:5], v[8:9], -v[0:1]
	v_mul_lo_u16_e32 v0, 34, v36
	v_and_b32_e32 v0, 0xfe, v0
	v_add_lshl_u32 v76, v0, v37, 4
	v_mul_u32_u24_e32 v0, 34, v38
	v_add_lshl_u32 v77, v0, v39, 4
	v_mad_legacy_u16 v0, v90, 34, v91
	v_lshlrev_b32_e32 v78, 4, v0
	v_mad_legacy_u16 v0, v92, 34, v93
	v_add_f64 v[54:55], v[58:59], -v[80:81]
	v_lshlrev_b32_e32 v79, 4, v0
	v_mad_legacy_u16 v0, v94, 34, v95
	v_fma_f64 v[8:9], v[8:9], 2.0, -v[4:5]
	v_fma_f64 v[10:11], v[10:11], 2.0, -v[6:7]
	;; [unrolled: 1-line block ×10, first 2 shown]
	v_lshlrev_b32_e32 v80, 4, v0
	v_mad_legacy_u16 v0, v96, 34, v97
	ds_write_b128 v76, v[8:11]
	ds_write_b128 v76, v[4:7] offset:272
	ds_write_b128 v77, v[12:15]
	ds_write_b128 v77, v[16:19] offset:272
	;; [unrolled: 2-line block ×5, first 2 shown]
	v_lshlrev_b32_e32 v54, 4, v0
	v_mad_legacy_u16 v0, v98, 34, v99
	v_lshrrev_b16_e32 v4, 13, v27
	v_mul_f64 v[84:85], v[68:69], v[218:219]
	v_mul_f64 v[88:89], v[72:73], v[226:227]
	v_lshlrev_b32_e32 v55, 4, v0
	v_mul_lo_u16_e32 v0, 34, v4
	v_fmac_f64_e32 v[84:85], v[70:71], v[216:217]
	v_fmac_f64_e32 v[88:89], v[74:75], v[224:225]
	v_sub_u16_e32 v0, v246, v0
	v_add_f64 v[68:69], v[60:61], -v[82:83]
	v_add_f64 v[70:71], v[62:63], -v[84:85]
	;; [unrolled: 1-line block ×4, first 2 shown]
	v_and_b32_e32 v5, 0xff, v0
	v_mov_b64_e32 v[0:1], s[10:11]
	v_fma_f64 v[60:61], v[60:61], 2.0, -v[68:69]
	v_fma_f64 v[62:63], v[62:63], 2.0, -v[70:71]
	;; [unrolled: 1-line block ×4, first 2 shown]
	v_mad_u64_u32 v[6:7], s[0:1], v5, s30, v[0:1]
	v_lshrrev_b16_e32 v27, 13, v3
	ds_write_b128 v54, v[60:63]
	ds_write_b128 v54, v[68:71] offset:272
	ds_write_b128 v55, v[64:67]
	ds_write_b128 v55, v[72:75] offset:272
	s_waitcnt lgkmcnt(0)
	s_barrier
	global_load_dwordx4 v[68:71], v[6:7], off offset:272
	global_load_dwordx4 v[64:67], v[6:7], off offset:288
	;; [unrolled: 1-line block ×6, first 2 shown]
	v_mul_lo_u16_e32 v3, 34, v27
	v_sub_u16_e32 v2, v2, v3
	v_and_b32_e32 v36, 0xff, v2
	v_mad_u64_u32 v[2:3], s[0:1], v36, s30, v[0:1]
	global_load_dwordx4 v[248:251], v[2:3], off offset:272
	global_load_dwordx4 v[240:243], v[2:3], off offset:288
	;; [unrolled: 1-line block ×6, first 2 shown]
	ds_read_b128 v[6:9], v26
	ds_read_b128 v[88:91], v26 offset:1904
	ds_read_b128 v[10:13], v26 offset:3808
	;; [unrolled: 1-line block ×13, first 2 shown]
	s_mov_b32 s10, 0x37e14327
	s_mov_b32 s0, 0x36b3c0b5
	;; [unrolled: 1-line block ×4, first 2 shown]
	v_mad_u64_u32 v[0:1], s[30:31], v246, s30, v[0:1]
	s_waitcnt lgkmcnt(0)
	s_barrier
	s_mov_b64 s[30:31], 0x2ca0
	s_waitcnt vmcnt(11)
	v_mul_f64 v[2:3], v[12:13], v[70:71]
	v_fma_f64 v[2:3], v[10:11], v[68:69], -v[2:3]
	v_mul_f64 v[10:11], v[10:11], v[70:71]
	v_fmac_f64_e32 v[10:11], v[12:13], v[68:69]
	s_waitcnt vmcnt(10)
	v_mul_f64 v[12:13], v[20:21], v[66:67]
	v_fma_f64 v[12:13], v[18:19], v[64:65], -v[12:13]
	v_mul_f64 v[18:19], v[18:19], v[66:67]
	s_waitcnt vmcnt(8)
	v_mul_f64 v[32:33], v[100:101], v[58:59]
	v_fmac_f64_e32 v[18:19], v[20:21], v[64:65]
	v_mul_f64 v[20:21], v[94:95], v[62:63]
	v_mul_f64 v[30:31], v[102:103], v[58:59]
	v_fmac_f64_e32 v[32:33], v[102:103], v[56:57]
	s_waitcnt vmcnt(7)
	v_mul_f64 v[34:35], v[110:111], v[230:231]
	s_waitcnt vmcnt(5)
	v_mul_f64 v[102:103], v[16:17], v[250:251]
	v_fma_f64 v[20:21], v[92:93], v[60:61], -v[20:21]
	v_mul_f64 v[28:29], v[92:93], v[62:63]
	v_fma_f64 v[34:35], v[108:109], v[228:229], -v[34:35]
	;; [unrolled: 2-line block ×3, first 2 shown]
	v_mul_f64 v[108:109], v[14:15], v[250:251]
	s_waitcnt vmcnt(4)
	v_mul_f64 v[14:15], v[24:25], v[242:243]
	v_fma_f64 v[30:31], v[100:101], v[56:57], -v[30:31]
	v_fmac_f64_e32 v[92:93], v[110:111], v[228:229]
	v_mul_f64 v[100:101], v[116:117], v[74:75]
	v_fma_f64 v[110:111], v[22:23], v[240:241], -v[14:15]
	s_waitcnt vmcnt(3)
	v_mul_f64 v[14:15], v[98:99], v[238:239]
	v_fmac_f64_e32 v[28:29], v[94:95], v[60:61]
	v_mul_f64 v[94:95], v[118:119], v[74:75]
	v_fmac_f64_e32 v[100:101], v[118:119], v[72:73]
	v_fma_f64 v[118:119], v[96:97], v[236:237], -v[14:15]
	s_waitcnt vmcnt(2)
	v_mul_f64 v[14:15], v[106:107], v[234:235]
	v_fma_f64 v[126:127], v[104:105], v[232:233], -v[14:15]
	v_mul_f64 v[104:105], v[104:105], v[234:235]
	s_waitcnt vmcnt(1)
	v_mul_f64 v[14:15], v[114:115], v[86:87]
	v_fma_f64 v[94:95], v[116:117], v[72:73], -v[94:95]
	v_fmac_f64_e32 v[104:105], v[106:107], v[232:233]
	v_fma_f64 v[106:107], v[112:113], v[84:85], -v[14:15]
	v_mul_f64 v[112:113], v[112:113], v[86:87]
	s_waitcnt vmcnt(0)
	v_mul_f64 v[14:15], v[122:123], v[254:255]
	v_mul_f64 v[116:117], v[22:23], v[242:243]
	v_fmac_f64_e32 v[112:113], v[114:115], v[84:85]
	v_fma_f64 v[114:115], v[120:121], v[252:253], -v[14:15]
	v_add_f64 v[14:15], v[2:3], v[94:95]
	v_add_f64 v[22:23], v[12:13], v[34:35]
	v_fmac_f64_e32 v[108:109], v[16:17], v[248:249]
	v_fmac_f64_e32 v[116:117], v[24:25], v[240:241]
	v_add_f64 v[16:17], v[10:11], v[100:101]
	v_add_f64 v[24:25], v[18:19], v[92:93]
	v_add_f64 v[12:13], v[12:13], -v[34:35]
	v_add_f64 v[34:35], v[20:21], v[30:31]
	v_add_f64 v[20:21], v[30:31], -v[20:21]
	v_add_f64 v[30:31], v[22:23], v[14:15]
	v_mul_f64 v[124:125], v[96:97], v[238:239]
	v_add_f64 v[18:19], v[18:19], -v[92:93]
	v_add_f64 v[92:93], v[28:29], v[32:33]
	v_add_f64 v[28:29], v[32:33], -v[28:29]
	v_add_f64 v[32:33], v[24:25], v[16:17]
	v_add_f64 v[30:31], v[34:35], v[30:31]
	v_fmac_f64_e32 v[124:125], v[98:99], v[236:237]
	v_mul_f64 v[120:121], v[120:121], v[254:255]
	v_add_f64 v[2:3], v[2:3], -v[94:95]
	v_add_f64 v[98:99], v[24:25], -v[16:17]
	;; [unrolled: 1-line block ×4, first 2 shown]
	v_add_f64 v[94:95], v[20:21], v[12:13]
	v_add_f64 v[32:33], v[92:93], v[32:33]
	v_add_f64 v[92:93], v[6:7], v[30:31]
	v_fmac_f64_e32 v[120:121], v[122:123], v[252:253]
	v_add_f64 v[10:11], v[10:11], -v[100:101]
	v_add_f64 v[96:97], v[22:23], -v[14:15]
	;; [unrolled: 1-line block ×4, first 2 shown]
	v_add_f64 v[100:101], v[28:29], v[18:19]
	v_add_f64 v[122:123], v[20:21], -v[12:13]
	v_add_f64 v[128:129], v[28:29], -v[18:19]
	;; [unrolled: 1-line block ×4, first 2 shown]
	v_add_f64 v[2:3], v[94:95], v[2:3]
	v_add_f64 v[94:95], v[8:9], v[32:33]
	v_mov_b64_e32 v[130:131], v[92:93]
	v_add_f64 v[28:29], v[10:11], -v[28:29]
	v_add_f64 v[18:19], v[18:19], -v[10:11]
	v_add_f64 v[10:11], v[100:101], v[10:11]
	v_mul_f64 v[6:7], v[14:15], s[10:11]
	v_mul_f64 v[8:9], v[16:17], s[10:11]
	;; [unrolled: 1-line block ×7, first 2 shown]
	v_fmac_f64_e32 v[130:131], s[18:19], v[30:31]
	v_mov_b64_e32 v[30:31], v[94:95]
	v_mul_f64 v[128:129], v[18:19], s[14:15]
	v_fmac_f64_e32 v[30:31], s[18:19], v[32:33]
	v_fma_f64 v[14:15], v[96:97], s[20:21], -v[14:15]
	v_fma_f64 v[16:17], v[98:99], s[20:21], -v[16:17]
	;; [unrolled: 1-line block ×3, first 2 shown]
	v_fmac_f64_e32 v[6:7], s[0:1], v[22:23]
	v_fma_f64 v[22:23], v[98:99], s[22:23], -v[8:9]
	v_fmac_f64_e32 v[8:9], s[0:1], v[24:25]
	v_fma_f64 v[24:25], v[12:13], s[14:15], -v[34:35]
	;; [unrolled: 2-line block ×4, first 2 shown]
	v_fma_f64 v[28:29], v[28:29], s[28:29], -v[128:129]
	v_add_f64 v[98:99], v[6:7], v[130:131]
	v_add_f64 v[122:123], v[8:9], v[30:31]
	;; [unrolled: 1-line block ×5, first 2 shown]
	v_fmac_f64_e32 v[34:35], s[26:27], v[2:3]
	v_fmac_f64_e32 v[100:101], s[26:27], v[10:11]
	;; [unrolled: 1-line block ×5, first 2 shown]
	v_add_f64 v[32:33], v[32:33], v[130:131]
	v_fmac_f64_e32 v[28:29], s[26:27], v[10:11]
	v_add_f64 v[6:7], v[100:101], v[98:99]
	v_add_f64 v[8:9], v[122:123], -v[34:35]
	v_add_f64 v[12:13], v[30:31], -v[96:97]
	;; [unrolled: 1-line block ×3, first 2 shown]
	v_add_f64 v[16:17], v[24:25], v[128:129]
	v_add_f64 v[18:19], v[18:19], v[20:21]
	v_add_f64 v[20:21], v[128:129], -v[24:25]
	v_add_f64 v[24:25], v[96:97], v[30:31]
	v_add_f64 v[96:97], v[98:99], -v[100:101]
	v_add_f64 v[98:99], v[34:35], v[122:123]
	v_add_f64 v[2:3], v[102:103], v[114:115]
	;; [unrolled: 1-line block ×4, first 2 shown]
	v_add_f64 v[22:23], v[32:33], -v[28:29]
	v_add_f64 v[28:29], v[108:109], v[120:121]
	v_add_f64 v[30:31], v[102:103], -v[114:115]
	v_add_f64 v[32:33], v[108:109], -v[120:121]
	v_add_f64 v[100:101], v[116:117], v[112:113]
	v_add_f64 v[108:109], v[118:119], v[126:127]
	;; [unrolled: 1-line block ×3, first 2 shown]
	v_add_f64 v[102:103], v[110:111], -v[106:107]
	v_add_f64 v[106:107], v[116:117], -v[112:113]
	v_add_f64 v[110:111], v[124:125], v[104:105]
	v_add_f64 v[112:113], v[126:127], -v[118:119]
	v_add_f64 v[116:117], v[100:101], v[28:29]
	v_add_f64 v[118:119], v[34:35], -v[2:3]
	v_add_f64 v[2:3], v[2:3], -v[108:109]
	;; [unrolled: 1-line block ×3, first 2 shown]
	v_add_f64 v[108:109], v[108:109], v[114:115]
	v_add_f64 v[104:105], v[104:105], -v[124:125]
	v_add_f64 v[120:121], v[100:101], -v[28:29]
	;; [unrolled: 1-line block ×4, first 2 shown]
	v_add_f64 v[110:111], v[110:111], v[116:117]
	v_add_f64 v[88:89], v[88:89], v[108:109]
	;; [unrolled: 1-line block ×3, first 2 shown]
	v_add_f64 v[128:129], v[104:105], -v[106:107]
	v_add_f64 v[90:91], v[90:91], v[110:111]
	v_mov_b64_e32 v[130:131], v[88:89]
	v_add_f64 v[122:123], v[112:113], v[102:103]
	v_add_f64 v[126:127], v[112:113], -v[102:103]
	v_add_f64 v[104:105], v[32:33], -v[104:105]
	;; [unrolled: 1-line block ×4, first 2 shown]
	v_add_f64 v[32:33], v[124:125], v[32:33]
	v_mul_f64 v[2:3], v[2:3], s[10:11]
	v_mul_f64 v[28:29], v[28:29], s[10:11]
	;; [unrolled: 1-line block ×5, first 2 shown]
	v_fmac_f64_e32 v[130:131], s[18:19], v[108:109]
	v_mov_b64_e32 v[108:109], v[90:91]
	v_add_f64 v[112:113], v[30:31], -v[112:113]
	v_add_f64 v[30:31], v[122:123], v[30:31]
	v_mul_f64 v[122:123], v[126:127], s[16:17]
	v_mul_f64 v[126:127], v[102:103], s[14:15]
	v_fmac_f64_e32 v[108:109], s[18:19], v[110:111]
	v_fma_f64 v[110:111], v[118:119], s[20:21], -v[114:115]
	v_fma_f64 v[114:115], v[120:121], s[20:21], -v[116:117]
	;; [unrolled: 1-line block ×3, first 2 shown]
	v_fmac_f64_e32 v[2:3], s[0:1], v[34:35]
	v_fma_f64 v[34:35], v[120:121], s[22:23], -v[28:29]
	v_fma_f64 v[120:121], v[106:107], s[14:15], -v[124:125]
	v_fmac_f64_e32 v[124:125], s[24:25], v[104:105]
	v_mul_f64 v[128:129], v[106:107], s[14:15]
	v_fmac_f64_e32 v[28:29], s[0:1], v[100:101]
	v_fma_f64 v[118:119], v[102:103], s[14:15], -v[122:123]
	v_fmac_f64_e32 v[122:123], s[24:25], v[112:113]
	v_fma_f64 v[126:127], v[112:113], s[28:29], -v[126:127]
	v_add_f64 v[2:3], v[2:3], v[130:131]
	v_add_f64 v[112:113], v[110:111], v[130:131]
	v_fmac_f64_e32 v[124:125], s[26:27], v[32:33]
	v_fmac_f64_e32 v[120:121], s[26:27], v[32:33]
	v_fma_f64 v[128:129], v[104:105], s[28:29], -v[128:129]
	v_add_f64 v[28:29], v[28:29], v[108:109]
	v_add_f64 v[114:115], v[114:115], v[108:109]
	;; [unrolled: 1-line block ×4, first 2 shown]
	v_add_f64 v[108:109], v[112:113], -v[120:121]
	v_add_f64 v[112:113], v[120:121], v[112:113]
	v_add_f64 v[120:121], v[2:3], -v[124:125]
	v_mul_u32_u24_e32 v2, 0xee, v4
	v_add_f64 v[116:117], v[116:117], v[130:131]
	v_fmac_f64_e32 v[122:123], s[26:27], v[30:31]
	v_fmac_f64_e32 v[118:119], s[26:27], v[30:31]
	;; [unrolled: 1-line block ×4, first 2 shown]
	v_add_lshl_u32 v81, v2, v5, 4
	v_mul_u32_u24_e32 v2, 0xee, v27
	v_add_f64 v[102:103], v[28:29], -v[122:123]
	v_add_f64 v[104:105], v[128:129], v[116:117]
	v_add_f64 v[106:107], v[34:35], -v[126:127]
	v_add_f64 v[110:111], v[118:119], v[114:115]
	v_add_lshl_u32 v82, v2, v36, 4
	v_add_f64 v[114:115], v[114:115], -v[118:119]
	v_add_f64 v[116:117], v[116:117], -v[128:129]
	v_add_f64 v[118:119], v[126:127], v[34:35]
	v_add_f64 v[122:123], v[122:123], v[28:29]
	ds_write_b128 v81, v[92:95]
	ds_write_b128 v81, v[6:9] offset:544
	ds_write_b128 v81, v[10:13] offset:1088
	ds_write_b128 v81, v[14:17] offset:1632
	ds_write_b128 v81, v[18:21] offset:2176
	ds_write_b128 v81, v[22:25] offset:2720
	ds_write_b128 v81, v[96:99] offset:3264
	ds_write_b128 v82, v[88:91]
	ds_write_b128 v82, v[100:103] offset:544
	ds_write_b128 v82, v[104:107] offset:1088
	;; [unrolled: 1-line block ×6, first 2 shown]
	s_waitcnt lgkmcnt(0)
	s_barrier
	global_load_dwordx4 v[100:103], v[0:1], off offset:3536
	global_load_dwordx4 v[96:99], v[0:1], off offset:3552
	;; [unrolled: 1-line block ×6, first 2 shown]
	v_lshl_add_u64 v[0:1], v[0:1], 0, s[30:31]
	global_load_dwordx4 v[124:127], v[0:1], off offset:3536
	global_load_dwordx4 v[120:123], v[0:1], off offset:3552
	;; [unrolled: 1-line block ×6, first 2 shown]
	ds_read_b128 v[0:3], v26
	ds_read_b128 v[4:7], v26 offset:1904
	ds_read_b128 v[8:11], v26 offset:3808
	;; [unrolled: 1-line block ×13, first 2 shown]
	v_lshlrev_b32_e32 v27, 4, v246
	s_waitcnt vmcnt(11) lgkmcnt(11)
	v_mul_f64 v[24:25], v[10:11], v[102:103]
	v_fma_f64 v[24:25], v[8:9], v[100:101], -v[24:25]
	v_mul_f64 v[8:9], v[8:9], v[102:103]
	s_waitcnt vmcnt(8) lgkmcnt(5)
	v_mul_f64 v[32:33], v[144:145], v[90:91]
	v_mul_f64 v[30:31], v[146:147], v[90:91]
	v_fmac_f64_e32 v[32:33], v[146:147], v[88:89]
	s_waitcnt vmcnt(5)
	v_mul_f64 v[146:147], v[14:15], v[126:127]
	v_fma_f64 v[168:169], v[12:13], v[124:125], -v[146:147]
	v_mul_f64 v[12:13], v[12:13], v[126:127]
	v_fmac_f64_e32 v[12:13], v[14:15], v[124:125]
	s_waitcnt vmcnt(4)
	v_mul_f64 v[14:15], v[22:23], v[122:123]
	v_fmac_f64_e32 v[8:9], v[10:11], v[100:101]
	v_mul_f64 v[10:11], v[18:19], v[98:99]
	v_fma_f64 v[14:15], v[20:21], v[120:121], -v[14:15]
	v_mul_f64 v[20:21], v[20:21], v[122:123]
	v_fma_f64 v[10:11], v[16:17], v[96:97], -v[10:11]
	v_mul_f64 v[16:17], v[16:17], v[98:99]
	v_fmac_f64_e32 v[20:21], v[22:23], v[120:121]
	s_waitcnt vmcnt(3)
	v_mul_f64 v[22:23], v[142:143], v[118:119]
	v_fmac_f64_e32 v[16:17], v[18:19], v[96:97]
	v_mul_f64 v[18:19], v[138:139], v[94:95]
	v_mul_f64 v[28:29], v[136:137], v[94:95]
	v_fma_f64 v[22:23], v[140:141], v[116:117], -v[22:23]
	v_mul_f64 v[170:171], v[140:141], v[118:119]
	s_waitcnt vmcnt(2) lgkmcnt(4)
	v_mul_f64 v[140:141], v[150:151], v[114:115]
	v_fma_f64 v[18:19], v[136:137], v[92:93], -v[18:19]
	v_fmac_f64_e32 v[28:29], v[138:139], v[92:93]
	v_fma_f64 v[30:31], v[144:145], v[88:89], -v[30:31]
	s_waitcnt lgkmcnt(3)
	v_mul_f64 v[34:35], v[154:155], v[110:111]
	v_mul_f64 v[136:137], v[152:153], v[110:111]
	s_waitcnt lgkmcnt(1)
	v_mul_f64 v[138:139], v[162:163], v[106:107]
	v_mul_f64 v[144:145], v[160:161], v[106:107]
	v_fma_f64 v[172:173], v[148:149], v[112:113], -v[140:141]
	s_waitcnt vmcnt(1)
	v_mul_f64 v[140:141], v[158:159], v[134:135]
	v_fma_f64 v[34:35], v[152:153], v[108:109], -v[34:35]
	v_fmac_f64_e32 v[136:137], v[154:155], v[108:109]
	v_fma_f64 v[138:139], v[160:161], v[104:105], -v[138:139]
	v_fmac_f64_e32 v[144:145], v[162:163], v[104:105]
	v_fma_f64 v[176:177], v[156:157], v[132:133], -v[140:141]
	s_waitcnt vmcnt(0) lgkmcnt(0)
	v_mul_f64 v[140:141], v[166:167], v[130:131]
	v_fmac_f64_e32 v[170:171], v[142:143], v[116:117]
	v_fma_f64 v[180:181], v[164:165], v[128:129], -v[140:141]
	v_add_f64 v[140:141], v[24:25], v[138:139]
	v_add_f64 v[142:143], v[8:9], v[144:145]
	v_add_f64 v[24:25], v[24:25], -v[138:139]
	v_add_f64 v[8:9], v[8:9], -v[144:145]
	v_add_f64 v[138:139], v[10:11], v[34:35]
	v_add_f64 v[144:145], v[16:17], v[136:137]
	v_mul_f64 v[174:175], v[148:149], v[114:115]
	v_add_f64 v[10:11], v[10:11], -v[34:35]
	v_add_f64 v[16:17], v[16:17], -v[136:137]
	v_add_f64 v[34:35], v[18:19], v[30:31]
	v_add_f64 v[136:137], v[28:29], v[32:33]
	v_add_f64 v[18:19], v[30:31], -v[18:19]
	v_add_f64 v[28:29], v[32:33], -v[28:29]
	v_add_f64 v[30:31], v[138:139], v[140:141]
	v_add_f64 v[32:33], v[144:145], v[142:143]
	v_fmac_f64_e32 v[174:175], v[150:151], v[112:113]
	v_mul_f64 v[178:179], v[156:157], v[134:135]
	v_add_f64 v[146:147], v[138:139], -v[140:141]
	v_add_f64 v[148:149], v[144:145], -v[142:143]
	;; [unrolled: 1-line block ×6, first 2 shown]
	v_add_f64 v[138:139], v[18:19], v[10:11]
	v_add_f64 v[154:155], v[18:19], -v[10:11]
	v_add_f64 v[156:157], v[28:29], -v[16:17]
	v_add_f64 v[30:31], v[34:35], v[30:31]
	v_add_f64 v[32:33], v[136:137], v[32:33]
	;; [unrolled: 1-line block ×3, first 2 shown]
	v_add_f64 v[18:19], v[24:25], -v[18:19]
	v_add_f64 v[28:29], v[8:9], -v[28:29]
	;; [unrolled: 1-line block ×4, first 2 shown]
	v_add_f64 v[24:25], v[138:139], v[24:25]
	v_add_f64 v[136:137], v[0:1], v[30:31]
	;; [unrolled: 1-line block ×3, first 2 shown]
	v_mul_f64 v[0:1], v[140:141], s[10:11]
	v_mul_f64 v[2:3], v[142:143], s[10:11]
	;; [unrolled: 1-line block ×7, first 2 shown]
	v_add_f64 v[8:9], v[152:153], v[8:9]
	v_mul_f64 v[142:143], v[10:11], s[14:15]
	v_mul_f64 v[152:153], v[16:17], s[14:15]
	v_fma_f64 v[30:31], s[18:19], v[30:31], v[136:137]
	v_fma_f64 v[32:33], s[18:19], v[32:33], v[138:139]
	v_fma_f64 v[34:35], v[146:147], s[20:21], -v[34:35]
	v_fma_f64 v[140:141], v[148:149], s[20:21], -v[140:141]
	;; [unrolled: 1-line block ×3, first 2 shown]
	v_fmac_f64_e32 v[0:1], s[0:1], v[150:151]
	v_fma_f64 v[148:149], v[148:149], s[22:23], -v[2:3]
	v_fmac_f64_e32 v[2:3], s[0:1], v[144:145]
	v_fma_f64 v[10:11], v[10:11], s[14:15], -v[162:163]
	;; [unrolled: 2-line block ×3, first 2 shown]
	v_fmac_f64_e32 v[160:161], s[24:25], v[28:29]
	v_fmac_f64_e32 v[178:179], v[158:159], v[132:133]
	;; [unrolled: 1-line block ×3, first 2 shown]
	v_fma_f64 v[18:19], v[18:19], s[28:29], -v[142:143]
	v_fma_f64 v[28:29], v[28:29], s[28:29], -v[152:153]
	v_add_f64 v[0:1], v[0:1], v[30:31]
	v_add_f64 v[2:3], v[2:3], v[32:33]
	;; [unrolled: 1-line block ×4, first 2 shown]
	v_fmac_f64_e32 v[162:163], s[26:27], v[24:25]
	v_fmac_f64_e32 v[160:161], s[26:27], v[8:9]
	;; [unrolled: 1-line block ×4, first 2 shown]
	v_add_f64 v[30:31], v[146:147], v[30:31]
	v_add_f64 v[32:33], v[148:149], v[32:33]
	v_fmac_f64_e32 v[18:19], s[26:27], v[24:25]
	v_fmac_f64_e32 v[28:29], s[26:27], v[8:9]
	v_add_f64 v[140:141], v[160:161], v[0:1]
	v_add_f64 v[142:143], v[2:3], -v[162:163]
	v_add_f64 v[148:149], v[34:35], -v[16:17]
	v_add_f64 v[150:151], v[10:11], v[154:155]
	v_add_f64 v[152:153], v[16:17], v[34:35]
	v_add_f64 v[154:155], v[154:155], -v[10:11]
	v_add_f64 v[160:161], v[0:1], -v[160:161]
	v_add_f64 v[162:163], v[162:163], v[2:3]
	v_add_f64 v[0:1], v[168:169], v[180:181]
	;; [unrolled: 1-line block ×3, first 2 shown]
	v_add_f64 v[10:11], v[12:13], -v[164:165]
	v_add_f64 v[12:13], v[14:15], v[176:177]
	v_add_f64 v[16:17], v[20:21], v[178:179]
	;; [unrolled: 1-line block ×3, first 2 shown]
	v_add_f64 v[146:147], v[32:33], -v[18:19]
	v_add_f64 v[156:157], v[30:31], -v[28:29]
	v_add_f64 v[158:159], v[18:19], v[32:33]
	v_add_f64 v[8:9], v[168:169], -v[180:181]
	v_add_f64 v[14:15], v[14:15], -v[176:177]
	v_add_f64 v[18:19], v[20:21], -v[178:179]
	v_add_f64 v[20:21], v[22:23], v[172:173]
	v_add_f64 v[24:25], v[170:171], v[174:175]
	v_add_f64 v[22:23], v[172:173], -v[22:23]
	v_add_f64 v[28:29], v[174:175], -v[170:171]
	v_add_f64 v[30:31], v[12:13], v[0:1]
	v_add_f64 v[32:33], v[16:17], v[2:3]
	v_add_f64 v[34:35], v[12:13], -v[0:1]
	v_add_f64 v[168:169], v[16:17], -v[2:3]
	;; [unrolled: 1-line block ×6, first 2 shown]
	v_add_f64 v[164:165], v[22:23], v[14:15]
	v_add_f64 v[166:167], v[28:29], v[18:19]
	v_add_f64 v[170:171], v[22:23], -v[14:15]
	v_add_f64 v[172:173], v[28:29], -v[18:19]
	;; [unrolled: 1-line block ×4, first 2 shown]
	v_add_f64 v[20:21], v[20:21], v[30:31]
	v_add_f64 v[24:25], v[24:25], v[32:33]
	v_add_f64 v[22:23], v[8:9], -v[22:23]
	v_add_f64 v[28:29], v[10:11], -v[28:29]
	v_add_f64 v[8:9], v[164:165], v[8:9]
	v_add_f64 v[10:11], v[166:167], v[10:11]
	;; [unrolled: 1-line block ×4, first 2 shown]
	v_mul_f64 v[0:1], v[0:1], s[10:11]
	v_mul_f64 v[2:3], v[2:3], s[10:11]
	v_mul_f64 v[4:5], v[12:13], s[0:1]
	v_mul_f64 v[6:7], v[16:17], s[0:1]
	v_mul_f64 v[30:31], v[170:171], s[16:17]
	v_mul_f64 v[32:33], v[172:173], s[16:17]
	v_mul_f64 v[170:171], v[14:15], s[14:15]
	v_mul_f64 v[172:173], v[18:19], s[14:15]
	v_fma_f64 v[20:21], s[18:19], v[20:21], v[164:165]
	v_fma_f64 v[24:25], s[18:19], v[24:25], v[166:167]
	v_fma_f64 v[12:13], s[0:1], v[12:13], v[0:1]
	v_fma_f64 v[4:5], v[34:35], s[20:21], -v[4:5]
	v_fma_f64 v[6:7], v[168:169], s[20:21], -v[6:7]
	;; [unrolled: 1-line block ×4, first 2 shown]
	v_fmac_f64_e32 v[2:3], s[0:1], v[16:17]
	v_fma_f64 v[16:17], s[24:25], v[22:23], v[30:31]
	v_fma_f64 v[14:15], v[14:15], s[14:15], -v[30:31]
	v_fma_f64 v[18:19], v[18:19], s[14:15], -v[32:33]
	v_fmac_f64_e32 v[32:33], s[24:25], v[28:29]
	v_fma_f64 v[22:23], v[22:23], s[28:29], -v[170:171]
	v_fma_f64 v[28:29], v[28:29], s[28:29], -v[172:173]
	v_add_f64 v[12:13], v[12:13], v[20:21]
	v_add_f64 v[2:3], v[2:3], v[24:25]
	v_add_f64 v[4:5], v[4:5], v[20:21]
	v_add_f64 v[6:7], v[6:7], v[24:25]
	v_add_f64 v[0:1], v[0:1], v[20:21]
	v_add_f64 v[20:21], v[34:35], v[24:25]
	v_fmac_f64_e32 v[16:17], s[26:27], v[8:9]
	v_fmac_f64_e32 v[32:33], s[26:27], v[10:11]
	;; [unrolled: 1-line block ×6, first 2 shown]
	v_add_f64 v[168:169], v[32:33], v[12:13]
	v_add_f64 v[170:171], v[2:3], -v[16:17]
	v_add_f64 v[172:173], v[28:29], v[0:1]
	v_add_f64 v[174:175], v[20:21], -v[22:23]
	v_add_f64 v[176:177], v[4:5], -v[18:19]
	v_add_f64 v[178:179], v[14:15], v[6:7]
	v_add_f64 v[180:181], v[18:19], v[4:5]
	v_add_f64 v[182:183], v[6:7], -v[14:15]
	v_add_f64 v[184:185], v[0:1], -v[28:29]
	v_add_f64 v[186:187], v[22:23], v[20:21]
	v_add_f64 v[188:189], v[12:13], -v[32:33]
	v_add_f64 v[190:191], v[16:17], v[2:3]
	ds_write_b128 v26, v[136:139]
	ds_write_b128 v26, v[140:143] offset:3808
	ds_write_b128 v26, v[144:147] offset:7616
	;; [unrolled: 1-line block ×13, first 2 shown]
	s_waitcnt lgkmcnt(0)
	s_barrier
	s_and_saveexec_b64 s[0:1], s[2:3]
	s_cbranch_execz .LBB0_9
; %bb.8:
	v_mov_b32_e32 v245, 0
	v_lshl_add_u64 v[192:193], s[8:9], 0, v[244:245]
	v_add_co_u32_e32 v4, vcc, 0x6000, v192
	ds_read_b128 v[0:3], v26
	s_nop 0
	v_addc_co_u32_e32 v5, vcc, 0, v193, vcc
	global_load_dwordx4 v[4:7], v[4:5], off offset:2080
	s_mov_b64 s[10:11], 0x6820
	v_lshl_add_u64 v[12:13], v[192:193], 0, s[10:11]
	s_movk_i32 s10, 0x7000
	s_waitcnt vmcnt(0) lgkmcnt(0)
	v_mul_f64 v[8:9], v[2:3], v[6:7]
	v_mul_f64 v[10:11], v[0:1], v[6:7]
	v_fma_f64 v[8:9], v[0:1], v[4:5], -v[8:9]
	v_fmac_f64_e32 v[10:11], v[2:3], v[4:5]
	global_load_dwordx4 v[4:7], v[12:13], off offset:1568
	ds_write_b128 v26, v[8:11]
	ds_read_b128 v[0:3], v27 offset:1568
	s_waitcnt vmcnt(0) lgkmcnt(0)
	v_mul_f64 v[8:9], v[2:3], v[6:7]
	v_mul_f64 v[10:11], v[0:1], v[6:7]
	v_fma_f64 v[8:9], v[0:1], v[4:5], -v[8:9]
	v_fmac_f64_e32 v[10:11], v[2:3], v[4:5]
	global_load_dwordx4 v[4:7], v[12:13], off offset:3136
	ds_read_b128 v[0:3], v27 offset:3136
	ds_write_b128 v27, v[8:11] offset:1568
	s_waitcnt vmcnt(0) lgkmcnt(1)
	v_mul_f64 v[8:9], v[2:3], v[6:7]
	v_mul_f64 v[10:11], v[0:1], v[6:7]
	v_fma_f64 v[8:9], v[0:1], v[4:5], -v[8:9]
	v_fmac_f64_e32 v[10:11], v[2:3], v[4:5]
	v_add_co_u32_e32 v4, vcc, s10, v192
	ds_read_b128 v[0:3], v27 offset:4704
	s_nop 0
	v_addc_co_u32_e32 v5, vcc, 0, v193, vcc
	global_load_dwordx4 v[4:7], v[4:5], off offset:2688
	s_mov_b32 s10, 0x8000
	v_add_co_u32_e32 v12, vcc, s10, v192
	ds_write_b128 v27, v[8:11] offset:3136
	s_nop 0
	v_addc_co_u32_e32 v13, vcc, 0, v193, vcc
	s_mov_b32 s10, 0x9000
	s_waitcnt vmcnt(0) lgkmcnt(1)
	v_mul_f64 v[8:9], v[2:3], v[6:7]
	v_mul_f64 v[10:11], v[0:1], v[6:7]
	v_fma_f64 v[8:9], v[0:1], v[4:5], -v[8:9]
	v_fmac_f64_e32 v[10:11], v[2:3], v[4:5]
	global_load_dwordx4 v[4:7], v[12:13], off offset:160
	ds_read_b128 v[0:3], v27 offset:6272
	ds_write_b128 v27, v[8:11] offset:4704
	s_waitcnt vmcnt(0) lgkmcnt(1)
	v_mul_f64 v[8:9], v[2:3], v[6:7]
	v_mul_f64 v[10:11], v[0:1], v[6:7]
	v_fma_f64 v[8:9], v[0:1], v[4:5], -v[8:9]
	v_fmac_f64_e32 v[10:11], v[2:3], v[4:5]
	global_load_dwordx4 v[4:7], v[12:13], off offset:1728
	ds_read_b128 v[0:3], v27 offset:7840
	ds_write_b128 v27, v[8:11] offset:6272
	s_waitcnt vmcnt(0) lgkmcnt(1)
	v_mul_f64 v[8:9], v[2:3], v[6:7]
	v_mul_f64 v[10:11], v[0:1], v[6:7]
	v_fma_f64 v[8:9], v[0:1], v[4:5], -v[8:9]
	v_fmac_f64_e32 v[10:11], v[2:3], v[4:5]
	global_load_dwordx4 v[4:7], v[12:13], off offset:3296
	ds_read_b128 v[0:3], v27 offset:9408
	v_add_co_u32_e32 v12, vcc, s10, v192
	ds_write_b128 v27, v[8:11] offset:7840
	s_nop 0
	v_addc_co_u32_e32 v13, vcc, 0, v193, vcc
	s_mov_b32 s10, 0xa000
	s_waitcnt vmcnt(0) lgkmcnt(1)
	v_mul_f64 v[8:9], v[2:3], v[6:7]
	v_mul_f64 v[10:11], v[0:1], v[6:7]
	v_fma_f64 v[8:9], v[0:1], v[4:5], -v[8:9]
	v_fmac_f64_e32 v[10:11], v[2:3], v[4:5]
	global_load_dwordx4 v[4:7], v[12:13], off offset:768
	ds_read_b128 v[0:3], v27 offset:10976
	ds_write_b128 v27, v[8:11] offset:9408
	s_waitcnt vmcnt(0) lgkmcnt(1)
	v_mul_f64 v[8:9], v[2:3], v[6:7]
	v_mul_f64 v[10:11], v[0:1], v[6:7]
	v_fma_f64 v[8:9], v[0:1], v[4:5], -v[8:9]
	v_fmac_f64_e32 v[10:11], v[2:3], v[4:5]
	global_load_dwordx4 v[4:7], v[12:13], off offset:2336
	ds_read_b128 v[0:3], v27 offset:12544
	ds_write_b128 v27, v[8:11] offset:10976
	s_waitcnt vmcnt(0) lgkmcnt(1)
	v_mul_f64 v[8:9], v[2:3], v[6:7]
	v_mul_f64 v[10:11], v[0:1], v[6:7]
	v_fma_f64 v[8:9], v[0:1], v[4:5], -v[8:9]
	v_fmac_f64_e32 v[10:11], v[2:3], v[4:5]
	global_load_dwordx4 v[4:7], v[12:13], off offset:3904
	ds_read_b128 v[0:3], v27 offset:14112
	v_add_co_u32_e32 v12, vcc, s10, v192
	ds_write_b128 v27, v[8:11] offset:12544
	s_nop 0
	v_addc_co_u32_e32 v13, vcc, 0, v193, vcc
	s_mov_b32 s10, 0xb000
	s_waitcnt vmcnt(0) lgkmcnt(1)
	v_mul_f64 v[8:9], v[2:3], v[6:7]
	v_mul_f64 v[10:11], v[0:1], v[6:7]
	v_fma_f64 v[8:9], v[0:1], v[4:5], -v[8:9]
	v_fmac_f64_e32 v[10:11], v[2:3], v[4:5]
	global_load_dwordx4 v[4:7], v[12:13], off offset:1376
	ds_read_b128 v[0:3], v27 offset:15680
	ds_write_b128 v27, v[8:11] offset:14112
	s_waitcnt vmcnt(0) lgkmcnt(1)
	v_mul_f64 v[8:9], v[2:3], v[6:7]
	v_mul_f64 v[10:11], v[0:1], v[6:7]
	v_fma_f64 v[8:9], v[0:1], v[4:5], -v[8:9]
	v_fmac_f64_e32 v[10:11], v[2:3], v[4:5]
	global_load_dwordx4 v[4:7], v[12:13], off offset:2944
	ds_read_b128 v[0:3], v27 offset:17248
	v_add_co_u32_e32 v12, vcc, s10, v192
	ds_write_b128 v27, v[8:11] offset:15680
	s_nop 0
	v_addc_co_u32_e32 v13, vcc, 0, v193, vcc
	s_mov_b32 s10, 0xc000
	s_waitcnt vmcnt(0) lgkmcnt(1)
	v_mul_f64 v[8:9], v[2:3], v[6:7]
	v_mul_f64 v[10:11], v[0:1], v[6:7]
	v_fma_f64 v[8:9], v[0:1], v[4:5], -v[8:9]
	v_fmac_f64_e32 v[10:11], v[2:3], v[4:5]
	global_load_dwordx4 v[4:7], v[12:13], off offset:416
	ds_read_b128 v[0:3], v27 offset:18816
	ds_write_b128 v27, v[8:11] offset:17248
	s_waitcnt vmcnt(0) lgkmcnt(1)
	v_mul_f64 v[8:9], v[2:3], v[6:7]
	v_mul_f64 v[10:11], v[0:1], v[6:7]
	v_fma_f64 v[8:9], v[0:1], v[4:5], -v[8:9]
	v_fmac_f64_e32 v[10:11], v[2:3], v[4:5]
	global_load_dwordx4 v[4:7], v[12:13], off offset:1984
	ds_read_b128 v[0:3], v27 offset:20384
	ds_write_b128 v27, v[8:11] offset:18816
	s_waitcnt vmcnt(0) lgkmcnt(1)
	v_mul_f64 v[8:9], v[2:3], v[6:7]
	v_mul_f64 v[10:11], v[0:1], v[6:7]
	v_fma_f64 v[8:9], v[0:1], v[4:5], -v[8:9]
	v_fmac_f64_e32 v[10:11], v[2:3], v[4:5]
	global_load_dwordx4 v[4:7], v[12:13], off offset:3552
	ds_read_b128 v[0:3], v27 offset:21952
	v_add_co_u32_e32 v12, vcc, s10, v192
	ds_write_b128 v27, v[8:11] offset:20384
	s_nop 0
	v_addc_co_u32_e32 v13, vcc, 0, v193, vcc
	ds_read_b128 v[192:195], v27 offset:25088
	global_load_dwordx4 v[196:199], v[12:13], off offset:2592
	s_waitcnt vmcnt(1) lgkmcnt(2)
	v_mul_f64 v[8:9], v[2:3], v[6:7]
	v_mul_f64 v[10:11], v[0:1], v[6:7]
	v_fma_f64 v[8:9], v[0:1], v[4:5], -v[8:9]
	v_fmac_f64_e32 v[10:11], v[2:3], v[4:5]
	global_load_dwordx4 v[4:7], v[12:13], off offset:1024
	ds_read_b128 v[0:3], v27 offset:23520
	ds_write_b128 v27, v[8:11] offset:21952
	s_waitcnt vmcnt(0) lgkmcnt(1)
	v_mul_f64 v[8:9], v[2:3], v[6:7]
	v_mul_f64 v[10:11], v[0:1], v[6:7]
	v_fma_f64 v[8:9], v[0:1], v[4:5], -v[8:9]
	v_fmac_f64_e32 v[10:11], v[2:3], v[4:5]
	v_mul_f64 v[0:1], v[194:195], v[198:199]
	v_mul_f64 v[2:3], v[192:193], v[198:199]
	v_fma_f64 v[0:1], v[192:193], v[196:197], -v[0:1]
	v_fmac_f64_e32 v[2:3], v[194:195], v[196:197]
	ds_write_b128 v27, v[8:11] offset:23520
	ds_write_b128 v27, v[0:3] offset:25088
.LBB0_9:
	s_or_b64 exec, exec, s[0:1]
	s_waitcnt lgkmcnt(0)
	s_barrier
	s_and_saveexec_b64 s[0:1], s[2:3]
	s_cbranch_execz .LBB0_11
; %bb.10:
	ds_read_b128 v[136:139], v26
	ds_read_b128 v[140:143], v26 offset:1568
	ds_read_b128 v[144:147], v26 offset:3136
	;; [unrolled: 1-line block ×16, first 2 shown]
.LBB0_11:
	s_or_b64 exec, exec, s[0:1]
	s_waitcnt lgkmcnt(0)
	s_barrier
	s_and_saveexec_b64 s[0:1], s[2:3]
	s_cbranch_execz .LBB0_13
; %bb.12:
	v_accvgpr_write_b32 a52, v72
	v_accvgpr_write_b32 a53, v73
	;; [unrolled: 1-line block ×4, first 2 shown]
	v_accvgpr_read_b32 v75, a7
	v_mov_b32_e32 v245, v76
	v_accvgpr_write_b32 a1, v77
	v_accvgpr_write_b32 a3, v78
	;; [unrolled: 1-line block ×3, first 2 shown]
	v_accvgpr_read_b32 v79, a11
	v_accvgpr_read_b32 v73, a5
	;; [unrolled: 1-line block ×3, first 2 shown]
	v_accvgpr_write_b32 a24, v220
	s_mov_b32 s36, 0xacd6c6b4
	v_accvgpr_write_b32 a16, v200
	v_accvgpr_write_b32 a33, v80
	;; [unrolled: 1-line block ×4, first 2 shown]
	v_accvgpr_read_b32 v83, a15
	v_accvgpr_read_b32 v77, a9
	;; [unrolled: 1-line block ×3, first 2 shown]
	v_accvgpr_write_b32 a20, v216
	s_mov_b32 s40, 0x5d8e7cdc
	v_accvgpr_read_b32 v74, a6
	v_accvgpr_write_b32 a25, v221
	v_accvgpr_write_b32 a26, v222
	v_accvgpr_write_b32 a27, v223
	v_add_f64 v[220:221], v[140:141], -v[72:73]
	s_mov_b32 s37, 0xbfc7851a
	s_mov_b32 s30, 0x7faef3
	v_accvgpr_write_b32 a17, v201
	v_accvgpr_write_b32 a18, v202
	;; [unrolled: 1-line block ×3, first 2 shown]
	v_accvgpr_read_b32 v82, a14
	v_accvgpr_read_b32 v81, a13
	;; [unrolled: 1-line block ×3, first 2 shown]
	v_accvgpr_write_b32 a12, v208
	s_mov_b32 s34, 0x4363dd80
	v_accvgpr_read_b32 v78, a10
	v_accvgpr_write_b32 a21, v217
	v_accvgpr_write_b32 a22, v218
	;; [unrolled: 1-line block ×3, first 2 shown]
	v_add_f64 v[216:217], v[144:145], -v[76:77]
	s_mov_b32 s41, 0x3fd71e95
	s_mov_b32 s26, 0x370991
	v_mul_f64 v[198:199], v[220:221], s[36:37]
	v_add_f64 v[200:201], v[142:143], v[74:75]
	s_mov_b32 s31, 0xbfef7484
	v_accvgpr_write_b32 a4, v204
	s_mov_b32 s46, 0x2a9d6da3
	v_accvgpr_write_b32 a13, v209
	v_accvgpr_write_b32 a14, v210
	;; [unrolled: 1-line block ×3, first 2 shown]
	v_add_f64 v[208:209], v[148:149], -v[80:81]
	s_mov_b32 s35, 0xbfe0d888
	s_mov_b32 s24, 0x910ea3b9
	v_mul_f64 v[196:197], v[216:217], s[40:41]
	v_add_f64 v[10:11], v[146:147], v[78:79]
	s_mov_b32 s27, 0x3fedd6d0
	v_accvgpr_write_b32 a5, v205
	v_accvgpr_write_b32 a6, v206
	;; [unrolled: 1-line block ×3, first 2 shown]
	v_fma_f64 v[204:205], s[30:31], v[200:201], v[198:199]
	s_mov_b32 s28, 0x6c9a05f6
	v_add_f64 v[202:203], v[152:153], -v[188:189]
	s_mov_b32 s47, 0x3fe58eea
	s_mov_b32 s20, 0x75d4884
	v_mul_f64 v[194:195], v[208:209], s[34:35]
	v_add_f64 v[6:7], v[150:151], v[82:83]
	s_mov_b32 s25, 0xbfeb34fa
	v_fma_f64 v[24:25], s[26:27], v[10:11], v[196:197]
	v_add_f64 v[204:205], v[138:139], v[204:205]
	v_accvgpr_write_b32 a72, v248
	v_accvgpr_write_b32 a0, v246
	v_add_f64 v[246:247], v[156:157], -v[184:185]
	s_mov_b32 s29, 0xbfe9895b
	s_mov_b32 s18, 0x6ed5f1bb
	v_mul_f64 v[192:193], v[202:203], s[46:47]
	v_add_f64 v[2:3], v[154:155], v[190:191]
	s_mov_b32 s21, 0x3fe7a5f6
	v_fma_f64 v[22:23], s[24:25], v[6:7], v[194:195]
	v_add_f64 v[24:25], v[24:25], v[204:205]
	v_accvgpr_write_b32 a73, v249
	v_accvgpr_write_b32 a74, v250
	v_accvgpr_write_b32 a75, v251
	v_mul_f64 v[34:35], v[246:247], s[28:29]
	v_add_f64 v[248:249], v[158:159], v[186:187]
	s_mov_b32 s19, 0xbfe348c8
	v_fma_f64 v[20:21], s[20:21], v[2:3], v[192:193]
	v_add_f64 v[22:23], v[22:23], v[24:25]
	v_accvgpr_write_b32 a8, v212
	v_add_f64 v[24:25], v[142:143], -v[74:75]
	s_mov_b32 s38, 0x7c9e640b
	v_fma_f64 v[18:19], s[18:19], v[248:249], v[34:35]
	v_add_f64 v[20:21], v[20:21], v[22:23]
	v_accvgpr_write_b32 a9, v213
	v_accvgpr_write_b32 a10, v214
	;; [unrolled: 1-line block ×3, first 2 shown]
	v_add_f64 v[22:23], v[146:147], -v[78:79]
	v_add_f64 v[214:215], v[140:141], v[72:73]
	v_mul_f64 v[48:49], v[24:25], s[36:37]
	s_mov_b32 s22, 0x923c349f
	v_accvgpr_write_b32 a76, v252
	v_add_f64 v[8:9], v[160:161], -v[180:181]
	s_mov_b32 s39, 0x3feca52d
	s_mov_b32 s16, 0x2b2883cd
	v_add_f64 v[18:19], v[18:19], v[20:21]
	v_accvgpr_write_b32 a28, v224
	v_add_f64 v[20:21], v[150:151], -v[82:83]
	v_add_f64 v[218:219], v[144:145], v[76:77]
	v_mul_f64 v[44:45], v[22:23], s[40:41]
	v_fma_f64 v[50:51], v[214:215], s[30:31], -v[48:49]
	s_mov_b32 s50, 0xeb564b22
	v_add_f64 v[4:5], v[164:165], -v[176:177]
	s_mov_b32 s23, 0xbfeec746
	v_accvgpr_write_b32 a77, v253
	v_accvgpr_write_b32 a78, v254
	;; [unrolled: 1-line block ×3, first 2 shown]
	s_mov_b32 s14, 0xc61f0d01
	v_mul_f64 v[32:33], v[8:9], s[38:39]
	v_add_f64 v[254:255], v[162:163], v[182:183]
	s_mov_b32 s17, 0x3fdc86fa
	v_accvgpr_write_b32 a29, v225
	v_accvgpr_write_b32 a30, v226
	;; [unrolled: 1-line block ×3, first 2 shown]
	v_add_f64 v[226:227], v[154:155], -v[190:191]
	v_add_f64 v[212:213], v[148:149], v[80:81]
	v_mul_f64 v[40:41], v[20:21], s[34:35]
	v_fma_f64 v[46:47], v[218:219], s[26:27], -v[44:45]
	v_add_f64 v[50:51], v[136:137], v[50:51]
	v_add_f64 v[0:1], v[168:169], -v[172:173]
	s_mov_b32 s51, 0x3fefdd0d
	s_mov_b32 s10, 0x3259b75e
	v_mul_f64 v[30:31], v[4:5], s[22:23]
	v_add_f64 v[252:253], v[166:167], v[178:179]
	s_mov_b32 s15, 0xbfd183b1
	v_fma_f64 v[16:17], s[16:17], v[254:255], v[32:33]
	v_add_f64 v[224:225], v[158:159], -v[186:187]
	v_accvgpr_write_b32 a68, v240
	v_add_f64 v[206:207], v[152:153], v[188:189]
	v_mul_f64 v[36:37], v[226:227], s[46:47]
	v_fma_f64 v[42:43], v[212:213], s[24:25], -v[40:41]
	v_add_f64 v[46:47], v[46:47], v[50:51]
	v_mul_f64 v[28:29], v[0:1], s[50:51]
	v_add_f64 v[250:251], v[170:171], v[174:175]
	s_mov_b32 s11, 0x3fb79ee6
	v_fma_f64 v[14:15], s[14:15], v[252:253], v[30:31]
	v_add_f64 v[16:17], v[16:17], v[18:19]
	v_add_f64 v[18:19], v[162:163], -v[182:183]
	v_accvgpr_write_b32 a64, v236
	v_add_f64 v[210:211], v[156:157], v[184:185]
	v_accvgpr_write_b32 a69, v241
	v_accvgpr_write_b32 a70, v242
	v_accvgpr_write_b32 a71, v243
	v_mul_f64 v[240:241], v[224:225], s[28:29]
	v_fma_f64 v[38:39], v[206:207], s[20:21], -v[36:37]
	v_add_f64 v[42:43], v[42:43], v[46:47]
	v_fma_f64 v[12:13], s[10:11], v[250:251], v[28:29]
	v_add_f64 v[14:15], v[14:15], v[16:17]
	v_add_f64 v[16:17], v[166:167], -v[178:179]
	v_accvgpr_write_b32 a60, v232
	v_add_f64 v[204:205], v[160:161], v[180:181]
	v_accvgpr_write_b32 a65, v237
	v_accvgpr_write_b32 a66, v238
	;; [unrolled: 1-line block ×3, first 2 shown]
	v_mul_f64 v[236:237], v[18:19], s[38:39]
	v_fma_f64 v[242:243], v[210:211], s[18:19], -v[240:241]
	v_add_f64 v[38:39], v[38:39], v[42:43]
	v_add_f64 v[52:53], v[12:13], v[14:15]
	v_add_f64 v[222:223], v[170:171], -v[174:175]
	v_accvgpr_write_b32 a56, v228
	v_add_f64 v[14:15], v[164:165], v[176:177]
	v_accvgpr_write_b32 a61, v233
	v_accvgpr_write_b32 a62, v234
	;; [unrolled: 1-line block ×3, first 2 shown]
	v_mul_f64 v[232:233], v[16:17], s[22:23]
	v_fma_f64 v[238:239], v[204:205], s[16:17], -v[236:237]
	v_add_f64 v[38:39], v[242:243], v[38:39]
	v_add_f64 v[12:13], v[168:169], v[172:173]
	v_accvgpr_write_b32 a57, v229
	v_accvgpr_write_b32 a58, v230
	v_accvgpr_write_b32 a59, v231
	v_mul_f64 v[228:229], v[222:223], s[50:51]
	v_fma_f64 v[234:235], v[14:15], s[14:15], -v[232:233]
	v_add_f64 v[38:39], v[238:239], v[38:39]
	v_fma_f64 v[230:231], v[12:13], s[10:11], -v[228:229]
	v_add_f64 v[38:39], v[234:235], v[38:39]
	v_add_f64 v[50:51], v[230:231], v[38:39]
	v_accvgpr_write_b32 a85, v53
	v_accvgpr_write_b32 a84, v52
	;; [unrolled: 1-line block ×4, first 2 shown]
	v_fma_f64 v[50:51], v[200:201], s[30:31], -v[198:199]
	v_fma_f64 v[46:47], v[10:11], s[26:27], -v[196:197]
	v_add_f64 v[50:51], v[138:139], v[50:51]
	v_fma_f64 v[42:43], v[6:7], s[24:25], -v[194:195]
	v_add_f64 v[46:47], v[46:47], v[50:51]
	;; [unrolled: 2-line block ×7, first 2 shown]
	v_fmac_f64_e32 v[48:49], s[30:31], v[214:215]
	v_add_f64 v[30:31], v[28:29], v[30:31]
	v_fmac_f64_e32 v[44:45], s[26:27], v[218:219]
	v_add_f64 v[28:29], v[136:137], v[48:49]
	;; [unrolled: 2-line block ×4, first 2 shown]
	v_mul_f64 v[196:197], v[220:221], s[34:35]
	v_fmac_f64_e32 v[240:241], s[18:19], v[210:211]
	v_add_f64 v[28:29], v[36:37], v[28:29]
	s_mov_b32 s45, 0xbfefdd0d
	s_mov_b32 s44, s50
	v_mul_f64 v[192:193], v[216:217], s[38:39]
	v_fma_f64 v[198:199], s[24:25], v[200:201], v[196:197]
	v_fmac_f64_e32 v[236:237], s[16:17], v[204:205]
	v_add_f64 v[28:29], v[240:241], v[28:29]
	s_mov_b32 s57, 0x3fe9895b
	s_mov_b32 s56, s28
	v_mul_f64 v[48:49], v[208:209], s[44:45]
	v_fma_f64 v[194:195], s[16:17], v[10:11], v[192:193]
	v_add_f64 v[198:199], v[138:139], v[198:199]
	v_mul_f64 v[240:241], v[24:25], s[34:35]
	v_fmac_f64_e32 v[232:233], s[14:15], v[14:15]
	v_add_f64 v[28:29], v[236:237], v[28:29]
	s_mov_b32 s43, 0xbfd71e95
	s_mov_b32 s42, s40
	v_mul_f64 v[44:45], v[202:203], s[56:57]
	v_fma_f64 v[50:51], s[10:11], v[6:7], v[48:49]
	v_add_f64 v[194:195], v[194:195], v[198:199]
	v_mul_f64 v[236:237], v[22:23], s[38:39]
	v_fma_f64 v[242:243], v[214:215], s[24:25], -v[240:241]
	v_fmac_f64_e32 v[228:229], s[10:11], v[12:13]
	v_add_f64 v[28:29], v[232:233], v[28:29]
	v_mul_f64 v[40:41], v[246:247], s[42:43]
	v_fma_f64 v[46:47], s[18:19], v[2:3], v[44:45]
	v_add_f64 v[50:51], v[50:51], v[194:195]
	v_mul_f64 v[232:233], v[20:21], s[44:45]
	v_fma_f64 v[238:239], v[218:219], s[16:17], -v[236:237]
	v_add_f64 v[242:243], v[136:137], v[242:243]
	v_add_f64 v[28:29], v[228:229], v[28:29]
	v_mul_f64 v[36:37], v[8:9], s[36:37]
	v_fma_f64 v[42:43], s[26:27], v[248:249], v[40:41]
	v_add_f64 v[46:47], v[46:47], v[50:51]
	v_mul_f64 v[228:229], v[226:227], s[56:57]
	v_fma_f64 v[234:235], v[212:213], s[10:11], -v[232:233]
	v_add_f64 v[238:239], v[238:239], v[242:243]
	v_accvgpr_write_b32 a89, v31
	v_mul_f64 v[32:33], v[4:5], s[46:47]
	v_fma_f64 v[38:39], s[30:31], v[254:255], v[36:37]
	v_add_f64 v[42:43], v[42:43], v[46:47]
	v_mul_f64 v[194:195], v[224:225], s[42:43]
	v_fma_f64 v[230:231], v[206:207], s[18:19], -v[228:229]
	v_add_f64 v[234:235], v[234:235], v[238:239]
	v_accvgpr_write_b32 a88, v30
	v_accvgpr_write_b32 a87, v29
	;; [unrolled: 1-line block ×3, first 2 shown]
	v_mul_f64 v[28:29], v[0:1], s[22:23]
	v_fma_f64 v[34:35], s[20:21], v[252:253], v[32:33]
	v_add_f64 v[38:39], v[38:39], v[42:43]
	v_mul_f64 v[46:47], v[18:19], s[36:37]
	v_fma_f64 v[198:199], v[210:211], s[26:27], -v[194:195]
	v_add_f64 v[230:231], v[230:231], v[234:235]
	v_fma_f64 v[30:31], s[14:15], v[250:251], v[28:29]
	v_add_f64 v[34:35], v[34:35], v[38:39]
	v_mul_f64 v[38:39], v[16:17], s[46:47]
	v_fma_f64 v[50:51], v[204:205], s[30:31], -v[46:47]
	v_add_f64 v[198:199], v[198:199], v[230:231]
	v_add_f64 v[52:53], v[30:31], v[34:35]
	v_mul_f64 v[30:31], v[222:223], s[22:23]
	v_fma_f64 v[42:43], v[14:15], s[20:21], -v[38:39]
	v_add_f64 v[50:51], v[50:51], v[198:199]
	v_fma_f64 v[34:35], v[12:13], s[14:15], -v[30:31]
	v_add_f64 v[42:43], v[42:43], v[50:51]
	v_add_f64 v[50:51], v[34:35], v[42:43]
	v_fma_f64 v[42:43], v[6:7], s[10:11], -v[48:49]
	v_fma_f64 v[48:49], v[200:201], s[24:25], -v[196:197]
	;; [unrolled: 1-line block ×6, first 2 shown]
	v_add_f64 v[48:49], v[138:139], v[48:49]
	v_add_f64 v[44:45], v[44:45], v[48:49]
	;; [unrolled: 1-line block ×5, first 2 shown]
	v_fma_f64 v[32:33], v[252:253], s[20:21], -v[32:33]
	v_add_f64 v[34:35], v[34:35], v[36:37]
	v_fma_f64 v[28:29], v[250:251], s[14:15], -v[28:29]
	v_add_f64 v[32:33], v[32:33], v[34:35]
	v_fmac_f64_e32 v[240:241], s[24:25], v[214:215]
	v_add_f64 v[32:33], v[28:29], v[32:33]
	v_fmac_f64_e32 v[236:237], s[16:17], v[218:219]
	;; [unrolled: 2-line block ×4, first 2 shown]
	v_add_f64 v[28:29], v[232:233], v[28:29]
	s_mov_b32 s55, 0x3feec746
	s_mov_b32 s54, s22
	v_mul_f64 v[196:197], v[220:221], s[28:29]
	v_fmac_f64_e32 v[194:195], s[26:27], v[210:211]
	v_add_f64 v[28:29], v[228:229], v[28:29]
	v_mul_f64 v[192:193], v[216:217], s[54:55]
	v_fma_f64 v[198:199], s[18:19], v[200:201], v[196:197]
	v_accvgpr_write_b32 a93, v53
	v_fmac_f64_e32 v[46:47], s[30:31], v[204:205]
	v_add_f64 v[28:29], v[194:195], v[28:29]
	v_mul_f64 v[48:49], v[208:209], s[42:43]
	v_fma_f64 v[194:195], s[14:15], v[10:11], v[192:193]
	v_add_f64 v[198:199], v[138:139], v[198:199]
	v_mul_f64 v[240:241], v[24:25], s[28:29]
	v_accvgpr_write_b32 a92, v52
	v_accvgpr_write_b32 a91, v51
	;; [unrolled: 1-line block ×3, first 2 shown]
	v_fmac_f64_e32 v[38:39], s[20:21], v[14:15]
	v_add_f64 v[28:29], v[46:47], v[28:29]
	v_mul_f64 v[44:45], v[202:203], s[34:35]
	v_fma_f64 v[50:51], s[26:27], v[6:7], v[48:49]
	v_add_f64 v[194:195], v[194:195], v[198:199]
	v_mul_f64 v[236:237], v[22:23], s[54:55]
	v_fma_f64 v[242:243], v[214:215], s[18:19], -v[240:241]
	v_fmac_f64_e32 v[30:31], s[14:15], v[12:13]
	v_add_f64 v[28:29], v[38:39], v[28:29]
	s_mov_b32 s49, 0xbfe58eea
	s_mov_b32 s48, s46
	v_mul_f64 v[40:41], v[246:247], s[50:51]
	v_fma_f64 v[46:47], s[24:25], v[2:3], v[44:45]
	v_add_f64 v[50:51], v[50:51], v[194:195]
	v_mul_f64 v[232:233], v[20:21], s[42:43]
	v_fma_f64 v[238:239], v[218:219], s[14:15], -v[236:237]
	v_add_f64 v[242:243], v[136:137], v[242:243]
	v_add_f64 v[30:31], v[30:31], v[28:29]
	v_accvgpr_write_b32 a97, v33
	v_mul_f64 v[36:37], v[8:9], s[48:49]
	v_fma_f64 v[42:43], s[10:11], v[248:249], v[40:41]
	v_add_f64 v[46:47], v[46:47], v[50:51]
	v_mul_f64 v[228:229], v[226:227], s[34:35]
	v_fma_f64 v[234:235], v[212:213], s[26:27], -v[232:233]
	v_add_f64 v[238:239], v[238:239], v[242:243]
	v_accvgpr_write_b32 a96, v32
	v_accvgpr_write_b32 a95, v31
	;; [unrolled: 1-line block ×3, first 2 shown]
	v_mul_f64 v[32:33], v[4:5], s[36:37]
	v_fma_f64 v[38:39], s[20:21], v[254:255], v[36:37]
	v_add_f64 v[42:43], v[42:43], v[46:47]
	v_mul_f64 v[194:195], v[224:225], s[50:51]
	v_fma_f64 v[230:231], v[206:207], s[24:25], -v[228:229]
	v_add_f64 v[234:235], v[234:235], v[238:239]
	v_mul_f64 v[28:29], v[0:1], s[38:39]
	v_fma_f64 v[34:35], s[30:31], v[252:253], v[32:33]
	v_add_f64 v[38:39], v[38:39], v[42:43]
	v_mul_f64 v[46:47], v[18:19], s[48:49]
	v_fma_f64 v[198:199], v[210:211], s[10:11], -v[194:195]
	v_add_f64 v[230:231], v[230:231], v[234:235]
	v_fma_f64 v[30:31], s[16:17], v[250:251], v[28:29]
	v_add_f64 v[34:35], v[34:35], v[38:39]
	v_mul_f64 v[38:39], v[16:17], s[36:37]
	v_fma_f64 v[50:51], v[204:205], s[20:21], -v[46:47]
	v_add_f64 v[198:199], v[198:199], v[230:231]
	v_add_f64 v[52:53], v[30:31], v[34:35]
	v_mul_f64 v[30:31], v[222:223], s[38:39]
	v_fma_f64 v[42:43], v[14:15], s[30:31], -v[38:39]
	v_add_f64 v[50:51], v[50:51], v[198:199]
	v_fma_f64 v[34:35], v[12:13], s[16:17], -v[30:31]
	v_add_f64 v[42:43], v[42:43], v[50:51]
	v_add_f64 v[50:51], v[34:35], v[42:43]
	v_fma_f64 v[42:43], v[6:7], s[26:27], -v[48:49]
	v_fma_f64 v[48:49], v[200:201], s[18:19], -v[196:197]
	;; [unrolled: 1-line block ×6, first 2 shown]
	v_add_f64 v[48:49], v[138:139], v[48:49]
	v_add_f64 v[44:45], v[44:45], v[48:49]
	;; [unrolled: 1-line block ×5, first 2 shown]
	v_fma_f64 v[32:33], v[252:253], s[30:31], -v[32:33]
	v_add_f64 v[34:35], v[34:35], v[36:37]
	v_fma_f64 v[28:29], v[250:251], s[16:17], -v[28:29]
	v_add_f64 v[32:33], v[32:33], v[34:35]
	v_fmac_f64_e32 v[240:241], s[18:19], v[214:215]
	v_add_f64 v[32:33], v[28:29], v[32:33]
	v_fmac_f64_e32 v[236:237], s[14:15], v[218:219]
	;; [unrolled: 2-line block ×4, first 2 shown]
	v_add_f64 v[28:29], v[232:233], v[28:29]
	s_mov_b32 s59, 0x3fe0d888
	s_mov_b32 s58, s34
	v_mul_f64 v[196:197], v[220:221], s[22:23]
	v_fmac_f64_e32 v[194:195], s[10:11], v[210:211]
	v_add_f64 v[28:29], v[228:229], v[28:29]
	v_mul_f64 v[192:193], v[216:217], s[58:59]
	v_fma_f64 v[198:199], s[14:15], v[200:201], v[196:197]
	v_accvgpr_write_b32 a101, v53
	v_fmac_f64_e32 v[46:47], s[20:21], v[204:205]
	v_add_f64 v[28:29], v[194:195], v[28:29]
	s_mov_b32 s53, 0xbfeca52d
	s_mov_b32 s52, s38
	v_mul_f64 v[48:49], v[208:209], s[46:47]
	v_fma_f64 v[194:195], s[24:25], v[10:11], v[192:193]
	v_add_f64 v[198:199], v[138:139], v[198:199]
	v_mul_f64 v[240:241], v[24:25], s[22:23]
	v_accvgpr_write_b32 a100, v52
	v_accvgpr_write_b32 a99, v51
	;; [unrolled: 1-line block ×3, first 2 shown]
	v_fmac_f64_e32 v[38:39], s[30:31], v[14:15]
	v_add_f64 v[28:29], v[46:47], v[28:29]
	v_mul_f64 v[44:45], v[202:203], s[52:53]
	v_fma_f64 v[50:51], s[20:21], v[6:7], v[48:49]
	v_add_f64 v[194:195], v[194:195], v[198:199]
	v_mul_f64 v[236:237], v[22:23], s[58:59]
	v_fma_f64 v[242:243], v[214:215], s[14:15], -v[240:241]
	v_fmac_f64_e32 v[30:31], s[16:17], v[12:13]
	v_add_f64 v[28:29], v[38:39], v[28:29]
	v_mul_f64 v[40:41], v[246:247], s[36:37]
	v_fma_f64 v[46:47], s[16:17], v[2:3], v[44:45]
	v_add_f64 v[50:51], v[50:51], v[194:195]
	v_mul_f64 v[232:233], v[20:21], s[46:47]
	v_fma_f64 v[238:239], v[218:219], s[24:25], -v[236:237]
	v_add_f64 v[242:243], v[136:137], v[242:243]
	v_add_f64 v[30:31], v[30:31], v[28:29]
	v_accvgpr_write_b32 a105, v33
	v_mul_f64 v[36:37], v[8:9], s[50:51]
	v_fma_f64 v[42:43], s[30:31], v[248:249], v[40:41]
	v_add_f64 v[46:47], v[46:47], v[50:51]
	v_mul_f64 v[228:229], v[226:227], s[52:53]
	v_fma_f64 v[234:235], v[212:213], s[20:21], -v[232:233]
	v_add_f64 v[238:239], v[238:239], v[242:243]
	v_accvgpr_write_b32 a104, v32
	v_accvgpr_write_b32 a103, v31
	;; [unrolled: 1-line block ×3, first 2 shown]
	v_mul_f64 v[32:33], v[4:5], s[42:43]
	v_fma_f64 v[38:39], s[10:11], v[254:255], v[36:37]
	v_add_f64 v[42:43], v[42:43], v[46:47]
	v_mul_f64 v[194:195], v[224:225], s[36:37]
	v_fma_f64 v[230:231], v[206:207], s[16:17], -v[228:229]
	v_add_f64 v[234:235], v[234:235], v[238:239]
	v_mul_f64 v[28:29], v[0:1], s[28:29]
	v_fma_f64 v[34:35], s[26:27], v[252:253], v[32:33]
	v_add_f64 v[38:39], v[38:39], v[42:43]
	v_mul_f64 v[46:47], v[18:19], s[50:51]
	v_fma_f64 v[198:199], v[210:211], s[30:31], -v[194:195]
	v_add_f64 v[230:231], v[230:231], v[234:235]
	v_fma_f64 v[30:31], s[18:19], v[250:251], v[28:29]
	v_add_f64 v[34:35], v[34:35], v[38:39]
	v_mul_f64 v[38:39], v[16:17], s[42:43]
	v_fma_f64 v[50:51], v[204:205], s[10:11], -v[46:47]
	v_add_f64 v[198:199], v[198:199], v[230:231]
	v_add_f64 v[52:53], v[30:31], v[34:35]
	v_mul_f64 v[30:31], v[222:223], s[28:29]
	v_fma_f64 v[42:43], v[14:15], s[26:27], -v[38:39]
	v_add_f64 v[50:51], v[50:51], v[198:199]
	v_fma_f64 v[34:35], v[12:13], s[18:19], -v[30:31]
	v_add_f64 v[42:43], v[42:43], v[50:51]
	v_add_f64 v[50:51], v[34:35], v[42:43]
	v_fma_f64 v[42:43], v[6:7], s[20:21], -v[48:49]
	v_fma_f64 v[48:49], v[200:201], s[14:15], -v[196:197]
	;; [unrolled: 1-line block ×6, first 2 shown]
	v_add_f64 v[48:49], v[138:139], v[48:49]
	v_add_f64 v[44:45], v[44:45], v[48:49]
	;; [unrolled: 1-line block ×5, first 2 shown]
	v_fma_f64 v[32:33], v[252:253], s[26:27], -v[32:33]
	v_add_f64 v[34:35], v[34:35], v[36:37]
	v_fma_f64 v[28:29], v[250:251], s[18:19], -v[28:29]
	v_add_f64 v[32:33], v[32:33], v[34:35]
	v_fmac_f64_e32 v[240:241], s[14:15], v[214:215]
	v_add_f64 v[32:33], v[28:29], v[32:33]
	v_fmac_f64_e32 v[236:237], s[24:25], v[218:219]
	;; [unrolled: 2-line block ×5, first 2 shown]
	v_add_f64 v[28:29], v[228:229], v[28:29]
	v_mul_f64 v[230:231], v[220:221], s[44:45]
	v_add_f64 v[28:29], v[194:195], v[28:29]
	v_mul_f64 v[228:229], v[216:217], s[36:37]
	v_fma_f64 v[194:195], s[10:11], v[200:201], v[230:231]
	v_accvgpr_write_b32 a109, v53
	v_fmac_f64_e32 v[46:47], s[10:11], v[204:205]
	v_mul_f64 v[48:49], v[208:209], s[54:55]
	v_fma_f64 v[192:193], s[30:31], v[10:11], v[228:229]
	v_add_f64 v[194:195], v[138:139], v[194:195]
	v_accvgpr_write_b32 a34, v54
	v_accvgpr_write_b32 a35, v55
	v_mul_f64 v[54:55], v[24:25], s[44:45]
	v_accvgpr_write_b32 a108, v52
	v_accvgpr_write_b32 a107, v51
	;; [unrolled: 1-line block ×3, first 2 shown]
	v_fmac_f64_e32 v[38:39], s[26:27], v[14:15]
	v_add_f64 v[28:29], v[46:47], v[28:29]
	v_mul_f64 v[44:45], v[202:203], s[40:41]
	v_fma_f64 v[50:51], s[14:15], v[6:7], v[48:49]
	v_add_f64 v[192:193], v[192:193], v[194:195]
	v_mul_f64 v[242:243], v[22:23], s[36:37]
	v_fma_f64 v[196:197], v[214:215], s[10:11], -v[54:55]
	v_fmac_f64_e32 v[30:31], s[18:19], v[12:13]
	v_add_f64 v[28:29], v[38:39], v[28:29]
	v_mul_f64 v[40:41], v[246:247], s[52:53]
	v_fma_f64 v[46:47], s[26:27], v[2:3], v[44:45]
	v_add_f64 v[50:51], v[50:51], v[192:193]
	v_mul_f64 v[238:239], v[20:21], s[54:55]
	v_fma_f64 v[52:53], v[218:219], s[30:31], -v[242:243]
	v_add_f64 v[196:197], v[136:137], v[196:197]
	v_add_f64 v[30:31], v[30:31], v[28:29]
	v_accvgpr_write_b32 a113, v33
	v_mul_f64 v[36:37], v[8:9], s[34:35]
	v_fma_f64 v[42:43], s[16:17], v[248:249], v[40:41]
	v_add_f64 v[46:47], v[46:47], v[50:51]
	v_mul_f64 v[234:235], v[226:227], s[40:41]
	v_fma_f64 v[240:241], v[212:213], s[14:15], -v[238:239]
	v_add_f64 v[52:53], v[52:53], v[196:197]
	v_accvgpr_write_b32 a112, v32
	v_accvgpr_write_b32 a111, v31
	;; [unrolled: 1-line block ×3, first 2 shown]
	v_mul_f64 v[32:33], v[4:5], s[56:57]
	v_fma_f64 v[38:39], s[24:25], v[254:255], v[36:37]
	v_add_f64 v[42:43], v[42:43], v[46:47]
	v_mul_f64 v[232:233], v[224:225], s[52:53]
	v_fma_f64 v[236:237], v[206:207], s[26:27], -v[234:235]
	v_add_f64 v[52:53], v[240:241], v[52:53]
	v_mul_f64 v[28:29], v[0:1], s[46:47]
	v_fma_f64 v[34:35], s[18:19], v[252:253], v[32:33]
	v_add_f64 v[38:39], v[38:39], v[42:43]
	v_mul_f64 v[46:47], v[18:19], s[34:35]
	v_fma_f64 v[192:193], v[210:211], s[16:17], -v[232:233]
	v_add_f64 v[52:53], v[236:237], v[52:53]
	v_fma_f64 v[30:31], s[20:21], v[250:251], v[28:29]
	v_add_f64 v[34:35], v[34:35], v[38:39]
	v_mul_f64 v[38:39], v[16:17], s[56:57]
	v_fma_f64 v[50:51], v[204:205], s[24:25], -v[46:47]
	v_add_f64 v[52:53], v[192:193], v[52:53]
	v_add_f64 v[194:195], v[30:31], v[34:35]
	v_mul_f64 v[30:31], v[222:223], s[46:47]
	v_fma_f64 v[42:43], v[14:15], s[18:19], -v[38:39]
	v_add_f64 v[50:51], v[50:51], v[52:53]
	v_fma_f64 v[34:35], v[12:13], s[20:21], -v[30:31]
	v_add_f64 v[42:43], v[42:43], v[50:51]
	v_add_f64 v[192:193], v[34:35], v[42:43]
	v_fma_f64 v[42:43], v[6:7], s[14:15], -v[48:49]
	v_fma_f64 v[48:49], v[200:201], s[10:11], -v[230:231]
	;; [unrolled: 1-line block ×6, first 2 shown]
	v_add_f64 v[48:49], v[138:139], v[48:49]
	v_add_f64 v[44:45], v[44:45], v[48:49]
	;; [unrolled: 1-line block ×5, first 2 shown]
	v_fma_f64 v[32:33], v[252:253], s[18:19], -v[32:33]
	v_add_f64 v[34:35], v[34:35], v[36:37]
	v_fma_f64 v[28:29], v[250:251], s[20:21], -v[28:29]
	v_add_f64 v[32:33], v[32:33], v[34:35]
	v_fmac_f64_e32 v[54:55], s[10:11], v[214:215]
	v_add_f64 v[230:231], v[28:29], v[32:33]
	v_fmac_f64_e32 v[242:243], s[30:31], v[218:219]
	v_add_f64 v[28:29], v[136:137], v[54:55]
	v_fmac_f64_e32 v[238:239], s[14:15], v[212:213]
	v_add_f64 v[28:29], v[242:243], v[28:29]
	v_mul_f64 v[196:197], v[220:221], s[52:53]
	v_fmac_f64_e32 v[234:235], s[26:27], v[206:207]
	v_add_f64 v[28:29], v[238:239], v[28:29]
	s_mov_b32 s51, 0x3fc7851a
	s_mov_b32 s50, s36
	v_mul_f64 v[52:53], v[216:217], s[28:29]
	v_fma_f64 v[198:199], s[16:17], v[200:201], v[196:197]
	v_accvgpr_write_b32 a40, v60
	v_fmac_f64_e32 v[232:233], s[16:17], v[210:211]
	v_add_f64 v[28:29], v[234:235], v[28:29]
	v_mul_f64 v[48:49], v[208:209], s[50:51]
	v_fma_f64 v[54:55], s[18:19], v[10:11], v[52:53]
	v_add_f64 v[198:199], v[138:139], v[198:199]
	v_accvgpr_write_b32 a36, v56
	v_accvgpr_write_b32 a41, v61
	;; [unrolled: 1-line block ×4, first 2 shown]
	v_mul_f64 v[60:61], v[24:25], s[52:53]
	v_fmac_f64_e32 v[46:47], s[24:25], v[204:205]
	v_add_f64 v[28:29], v[232:233], v[28:29]
	v_mul_f64 v[44:45], v[202:203], s[54:55]
	v_fma_f64 v[50:51], s[30:31], v[6:7], v[48:49]
	v_add_f64 v[54:55], v[54:55], v[198:199]
	v_accvgpr_write_b32 a37, v57
	v_accvgpr_write_b32 a38, v58
	v_accvgpr_write_b32 a39, v59
	v_mul_f64 v[56:57], v[22:23], s[28:29]
	v_fma_f64 v[62:63], v[214:215], s[16:17], -v[60:61]
	v_add_f64 v[28:29], v[46:47], v[28:29]
	v_mul_f64 v[40:41], v[246:247], s[46:47]
	v_fma_f64 v[46:47], s[14:15], v[2:3], v[44:45]
	v_add_f64 v[50:51], v[50:51], v[54:55]
	v_mul_f64 v[238:239], v[20:21], s[50:51]
	v_fma_f64 v[58:59], v[218:219], s[18:19], -v[56:57]
	v_add_f64 v[62:63], v[136:137], v[62:63]
	v_fmac_f64_e32 v[38:39], s[18:19], v[14:15]
	v_mul_f64 v[36:37], v[8:9], s[42:43]
	v_fma_f64 v[42:43], s[20:21], v[248:249], v[40:41]
	v_add_f64 v[46:47], v[46:47], v[50:51]
	v_mul_f64 v[236:237], v[226:227], s[54:55]
	v_fma_f64 v[240:241], v[212:213], s[30:31], -v[238:239]
	v_add_f64 v[58:59], v[58:59], v[62:63]
	v_fmac_f64_e32 v[30:31], s[20:21], v[12:13]
	v_add_f64 v[28:29], v[38:39], v[28:29]
	v_mul_f64 v[32:33], v[4:5], s[44:45]
	v_fma_f64 v[38:39], s[26:27], v[254:255], v[36:37]
	v_add_f64 v[42:43], v[42:43], v[46:47]
	v_mul_f64 v[54:55], v[224:225], s[46:47]
	v_fma_f64 v[232:233], v[206:207], s[14:15], -v[236:237]
	v_add_f64 v[58:59], v[240:241], v[58:59]
	v_add_f64 v[228:229], v[30:31], v[28:29]
	v_mul_f64 v[28:29], v[0:1], s[34:35]
	v_fma_f64 v[34:35], s[10:11], v[252:253], v[32:33]
	v_add_f64 v[38:39], v[38:39], v[42:43]
	v_mul_f64 v[46:47], v[18:19], s[42:43]
	v_fma_f64 v[198:199], v[210:211], s[20:21], -v[54:55]
	v_add_f64 v[58:59], v[232:233], v[58:59]
	v_fma_f64 v[30:31], s[24:25], v[250:251], v[28:29]
	v_add_f64 v[34:35], v[34:35], v[38:39]
	v_mul_f64 v[38:39], v[16:17], s[44:45]
	v_fma_f64 v[50:51], v[204:205], s[26:27], -v[46:47]
	v_add_f64 v[58:59], v[198:199], v[58:59]
	v_add_f64 v[234:235], v[30:31], v[34:35]
	v_mul_f64 v[30:31], v[222:223], s[34:35]
	v_fma_f64 v[42:43], v[14:15], s[10:11], -v[38:39]
	v_add_f64 v[50:51], v[50:51], v[58:59]
	v_fma_f64 v[34:35], v[12:13], s[24:25], -v[30:31]
	v_add_f64 v[42:43], v[42:43], v[50:51]
	v_add_f64 v[232:233], v[34:35], v[42:43]
	v_fma_f64 v[42:43], v[6:7], s[30:31], -v[48:49]
	v_fma_f64 v[48:49], v[200:201], s[16:17], -v[196:197]
	;; [unrolled: 1-line block ×6, first 2 shown]
	v_add_f64 v[48:49], v[138:139], v[48:49]
	v_add_f64 v[44:45], v[44:45], v[48:49]
	;; [unrolled: 1-line block ×5, first 2 shown]
	v_fma_f64 v[32:33], v[252:253], s[10:11], -v[32:33]
	v_add_f64 v[34:35], v[34:35], v[36:37]
	v_fma_f64 v[28:29], v[250:251], s[24:25], -v[28:29]
	v_add_f64 v[32:33], v[32:33], v[34:35]
	v_fmac_f64_e32 v[60:61], s[16:17], v[214:215]
	v_add_f64 v[242:243], v[28:29], v[32:33]
	v_fmac_f64_e32 v[56:57], s[18:19], v[218:219]
	;; [unrolled: 2-line block ×4, first 2 shown]
	v_add_f64 v[28:29], v[238:239], v[28:29]
	v_mul_f64 v[56:57], v[220:221], s[48:49]
	v_fmac_f64_e32 v[54:55], s[20:21], v[210:211]
	v_add_f64 v[28:29], v[236:237], v[28:29]
	v_mul_f64 v[52:53], v[216:217], s[44:45]
	v_fma_f64 v[58:59], s[20:21], v[200:201], v[56:57]
	v_accvgpr_write_b32 a48, v68
	v_add_f64 v[28:29], v[54:55], v[28:29]
	v_mul_f64 v[48:49], v[208:209], s[28:29]
	v_fma_f64 v[54:55], s[10:11], v[10:11], v[52:53]
	v_add_f64 v[58:59], v[138:139], v[58:59]
	v_accvgpr_write_b32 a44, v64
	v_accvgpr_write_b32 a49, v69
	;; [unrolled: 1-line block ×4, first 2 shown]
	v_mul_f64 v[68:69], v[24:25], s[48:49]
	v_fmac_f64_e32 v[46:47], s[26:27], v[204:205]
	v_mul_f64 v[44:45], v[202:203], s[36:37]
	v_fma_f64 v[50:51], s[18:19], v[6:7], v[48:49]
	v_add_f64 v[54:55], v[54:55], v[58:59]
	v_accvgpr_write_b32 a45, v65
	v_accvgpr_write_b32 a46, v66
	;; [unrolled: 1-line block ×3, first 2 shown]
	v_mul_f64 v[64:65], v[22:23], s[44:45]
	v_fma_f64 v[70:71], v[214:215], s[20:21], -v[68:69]
	v_add_f64 v[28:29], v[46:47], v[28:29]
	v_mul_f64 v[40:41], v[246:247], s[58:59]
	v_fma_f64 v[46:47], s[30:31], v[2:3], v[44:45]
	v_add_f64 v[50:51], v[50:51], v[54:55]
	v_mul_f64 v[196:197], v[20:21], s[28:29]
	v_fma_f64 v[66:67], v[218:219], s[10:11], -v[64:65]
	v_add_f64 v[70:71], v[136:137], v[70:71]
	v_fmac_f64_e32 v[38:39], s[10:11], v[14:15]
	v_mul_f64 v[36:37], v[8:9], s[54:55]
	v_fma_f64 v[42:43], s[24:25], v[248:249], v[40:41]
	v_add_f64 v[46:47], v[46:47], v[50:51]
	v_mul_f64 v[60:61], v[226:227], s[36:37]
	v_fma_f64 v[198:199], v[212:213], s[18:19], -v[196:197]
	v_add_f64 v[66:67], v[66:67], v[70:71]
	v_fmac_f64_e32 v[30:31], s[24:25], v[12:13]
	v_add_f64 v[28:29], v[38:39], v[28:29]
	v_mul_f64 v[32:33], v[4:5], s[38:39]
	v_fma_f64 v[38:39], s[14:15], v[254:255], v[36:37]
	v_add_f64 v[42:43], v[42:43], v[46:47]
	v_mul_f64 v[54:55], v[224:225], s[58:59]
	v_fma_f64 v[62:63], v[206:207], s[30:31], -v[60:61]
	v_add_f64 v[66:67], v[198:199], v[66:67]
	v_add_f64 v[240:241], v[30:31], v[28:29]
	v_mul_f64 v[28:29], v[0:1], s[40:41]
	v_fma_f64 v[34:35], s[16:17], v[252:253], v[32:33]
	v_add_f64 v[38:39], v[38:39], v[42:43]
	v_mul_f64 v[46:47], v[18:19], s[54:55]
	v_fma_f64 v[58:59], v[210:211], s[24:25], -v[54:55]
	v_add_f64 v[62:63], v[62:63], v[66:67]
	v_fma_f64 v[30:31], s[26:27], v[250:251], v[28:29]
	v_add_f64 v[34:35], v[34:35], v[38:39]
	v_mul_f64 v[38:39], v[16:17], s[38:39]
	v_fma_f64 v[50:51], v[204:205], s[14:15], -v[46:47]
	v_add_f64 v[58:59], v[58:59], v[62:63]
	v_add_f64 v[238:239], v[30:31], v[34:35]
	v_mul_f64 v[34:35], v[222:223], s[40:41]
	v_fma_f64 v[42:43], v[14:15], s[16:17], -v[38:39]
	v_add_f64 v[50:51], v[50:51], v[58:59]
	v_fma_f64 v[30:31], v[12:13], s[26:27], -v[34:35]
	v_add_f64 v[42:43], v[42:43], v[50:51]
	v_add_f64 v[236:237], v[30:31], v[42:43]
	v_fma_f64 v[42:43], v[6:7], s[18:19], -v[48:49]
	v_fma_f64 v[48:49], v[200:201], s[20:21], -v[56:57]
	;; [unrolled: 1-line block ×7, first 2 shown]
	v_add_f64 v[48:49], v[138:139], v[48:49]
	v_add_f64 v[44:45], v[44:45], v[48:49]
	;; [unrolled: 1-line block ×6, first 2 shown]
	v_fma_f64 v[28:29], v[250:251], s[26:27], -v[28:29]
	v_add_f64 v[30:31], v[30:31], v[32:33]
	v_fmac_f64_e32 v[68:69], s[20:21], v[214:215]
	v_add_f64 v[30:31], v[28:29], v[30:31]
	v_fmac_f64_e32 v[64:65], s[10:11], v[218:219]
	;; [unrolled: 2-line block ×5, first 2 shown]
	v_add_f64 v[28:29], v[60:61], v[28:29]
	v_add_f64 v[28:29], v[54:55], v[28:29]
	v_mul_f64 v[54:55], v[220:221], s[42:43]
	v_fmac_f64_e32 v[46:47], s[14:15], v[204:205]
	v_mul_f64 v[50:51], v[216:217], s[48:49]
	v_fma_f64 v[56:57], s[26:27], v[200:201], v[54:55]
	v_mul_f64 v[24:25], v[24:25], s[42:43]
	v_add_f64 v[28:29], v[46:47], v[28:29]
	v_mul_f64 v[46:47], v[208:209], s[52:53]
	v_fma_f64 v[52:53], s[20:21], v[10:11], v[50:51]
	v_add_f64 v[56:57], v[138:139], v[56:57]
	v_mul_f64 v[22:23], v[22:23], s[48:49]
	v_fma_f64 v[64:65], v[214:215], s[26:27], -v[24:25]
	v_fmac_f64_e32 v[38:39], s[16:17], v[14:15]
	v_mul_f64 v[42:43], v[202:203], s[44:45]
	v_fma_f64 v[48:49], s[16:17], v[6:7], v[46:47]
	v_add_f64 v[52:53], v[52:53], v[56:57]
	v_mul_f64 v[20:21], v[20:21], s[52:53]
	v_fma_f64 v[62:63], v[218:219], s[20:21], -v[22:23]
	v_add_f64 v[64:65], v[136:137], v[64:65]
	v_add_f64 v[28:29], v[38:39], v[28:29]
	v_mul_f64 v[38:39], v[246:247], s[22:23]
	v_fma_f64 v[44:45], s[10:11], v[2:3], v[42:43]
	v_add_f64 v[48:49], v[48:49], v[52:53]
	v_mul_f64 v[56:57], v[226:227], s[44:45]
	v_fma_f64 v[60:61], v[212:213], s[16:17], -v[20:21]
	v_add_f64 v[62:63], v[62:63], v[64:65]
	v_mul_f64 v[8:9], v[8:9], s[28:29]
	v_fma_f64 v[40:41], s[14:15], v[248:249], v[38:39]
	v_add_f64 v[44:45], v[44:45], v[48:49]
	v_mul_f64 v[48:49], v[224:225], s[22:23]
	v_fma_f64 v[58:59], v[206:207], s[10:11], -v[56:57]
	v_add_f64 v[60:61], v[60:61], v[62:63]
	v_fmac_f64_e32 v[34:35], s[26:27], v[12:13]
	v_mul_f64 v[4:5], v[4:5], s[34:35]
	v_fma_f64 v[36:37], s[18:19], v[254:255], v[8:9]
	v_add_f64 v[40:41], v[40:41], v[44:45]
	v_mul_f64 v[18:19], v[18:19], s[28:29]
	v_fma_f64 v[52:53], v[210:211], s[14:15], -v[48:49]
	v_add_f64 v[58:59], v[58:59], v[60:61]
	v_add_f64 v[28:29], v[34:35], v[28:29]
	v_mul_f64 v[0:1], v[0:1], s[36:37]
	v_fma_f64 v[34:35], s[24:25], v[252:253], v[4:5]
	v_add_f64 v[36:37], v[36:37], v[40:41]
	v_mul_f64 v[16:17], v[16:17], s[34:35]
	v_fma_f64 v[44:45], v[204:205], s[18:19], -v[18:19]
	v_add_f64 v[52:53], v[52:53], v[58:59]
	v_fma_f64 v[32:33], s[30:31], v[250:251], v[0:1]
	v_add_f64 v[34:35], v[34:35], v[36:37]
	v_mul_f64 v[36:37], v[222:223], s[36:37]
	v_fma_f64 v[40:41], v[14:15], s[24:25], -v[16:17]
	v_add_f64 v[44:45], v[44:45], v[52:53]
	v_add_f64 v[34:35], v[32:33], v[34:35]
	v_fma_f64 v[32:33], v[12:13], s[30:31], -v[36:37]
	v_add_f64 v[40:41], v[40:41], v[44:45]
	v_add_f64 v[32:33], v[32:33], v[40:41]
	v_fma_f64 v[40:41], v[200:201], s[26:27], -v[54:55]
	v_fma_f64 v[10:11], v[10:11], s[20:21], -v[50:51]
	v_add_f64 v[40:41], v[138:139], v[40:41]
	v_fma_f64 v[6:7], v[6:7], s[16:17], -v[46:47]
	v_add_f64 v[10:11], v[10:11], v[40:41]
	;; [unrolled: 2-line block ×6, first 2 shown]
	v_add_f64 v[2:3], v[4:5], v[2:3]
	v_add_f64 v[4:5], v[138:139], v[142:143]
	;; [unrolled: 1-line block ×25, first 2 shown]
	v_fma_f64 v[0:1], v[250:251], s[30:31], -v[0:1]
	v_fmac_f64_e32 v[24:25], s[26:27], v[214:215]
	v_add_f64 v[4:5], v[4:5], v[172:173]
	v_add_f64 v[2:3], v[0:1], v[2:3]
	v_fmac_f64_e32 v[22:23], s[20:21], v[218:219]
	v_add_f64 v[0:1], v[136:137], v[24:25]
	v_add_f64 v[4:5], v[4:5], v[176:177]
	;; [unrolled: 3-line block ×5, first 2 shown]
	v_accvgpr_read_b32 v246, a0
	v_fmac_f64_e32 v[18:19], s[18:19], v[204:205]
	v_add_f64 v[0:1], v[48:49], v[0:1]
	v_add_f64 v[4:5], v[4:5], v[80:81]
	v_fmac_f64_e32 v[16:17], s[24:25], v[14:15]
	v_add_f64 v[0:1], v[18:19], v[0:1]
	v_add_f64 v[4:5], v[4:5], v[76:77]
	v_mul_lo_u16_e32 v8, 17, v246
	v_fmac_f64_e32 v[36:37], s[30:31], v[12:13]
	v_add_f64 v[0:1], v[16:17], v[0:1]
	v_add_f64 v[4:5], v[4:5], v[72:73]
	v_lshlrev_b32_e32 v8, 4, v8
	v_accvgpr_read_b32 v71, a51
	v_accvgpr_read_b32 v223, a27
	;; [unrolled: 1-line block ×13, first 2 shown]
	v_add_f64 v[0:1], v[36:37], v[0:1]
	v_accvgpr_read_b32 v75, a55
	ds_write_b128 v8, v[4:7]
	ds_write_b128 v8, v[0:3] offset:16
	ds_write_b128 v8, v[28:31] offset:32
	;; [unrolled: 1-line block ×3, first 2 shown]
	v_accvgpr_read_b32 v243, a71
	ds_write_b128 v8, v[228:231] offset:64
	v_accvgpr_read_b32 v231, a59
	ds_write_b128 v8, a[110:113] offset:80
	ds_write_b128 v8, a[102:105] offset:96
	;; [unrolled: 1-line block ×10, first 2 shown]
	v_accvgpr_read_b32 v235, a63
	ds_write_b128 v8, v[236:239] offset:240
	v_accvgpr_read_b32 v239, a67
	v_accvgpr_read_b32 v70, a50
	v_accvgpr_read_b32 v69, a49
	v_accvgpr_read_b32 v68, a48
	v_accvgpr_read_b32 v222, a26
	v_accvgpr_read_b32 v221, a25
	v_accvgpr_read_b32 v220, a24
	v_accvgpr_read_b32 v226, a30
	v_accvgpr_read_b32 v225, a29
	v_accvgpr_read_b32 v224, a28
	v_accvgpr_read_b32 v66, a46
	v_accvgpr_read_b32 v65, a45
	v_accvgpr_read_b32 v64, a44
	v_accvgpr_read_b32 v62, a42
	v_accvgpr_read_b32 v61, a41
	v_accvgpr_read_b32 v60, a40
	v_accvgpr_read_b32 v254, a78
	v_accvgpr_read_b32 v253, a77
	v_accvgpr_read_b32 v252, a76
	v_accvgpr_read_b32 v250, a74
	v_accvgpr_read_b32 v249, a73
	v_accvgpr_read_b32 v248, a72
	v_accvgpr_read_b32 v55, a35
	v_accvgpr_read_b32 v54, a34
	v_accvgpr_read_b32 v202, a18
	v_accvgpr_read_b32 v201, a17
	v_accvgpr_read_b32 v200, a16
	v_accvgpr_read_b32 v210, a14
	v_accvgpr_read_b32 v209, a13
	v_accvgpr_read_b32 v208, a12
	v_accvgpr_read_b32 v206, a6
	v_accvgpr_read_b32 v205, a5
	v_accvgpr_read_b32 v204, a4
	v_accvgpr_read_b32 v218, a22
	v_accvgpr_read_b32 v217, a21
	v_accvgpr_read_b32 v216, a20
	v_accvgpr_read_b32 v214, a10
	v_accvgpr_read_b32 v213, a9
	v_accvgpr_read_b32 v212, a8
	v_accvgpr_read_b32 v58, a38
	v_accvgpr_read_b32 v57, a37
	v_accvgpr_read_b32 v56, a36
	v_accvgpr_read_b32 v82, a81
	v_accvgpr_read_b32 v79, a32
	v_accvgpr_read_b32 v78, a3
	v_accvgpr_read_b32 v81, a80
	v_accvgpr_read_b32 v80, a33
	v_accvgpr_read_b32 v77, a1
	v_mov_b32_e32 v76, v245
	v_accvgpr_read_b32 v74, a54
	v_accvgpr_read_b32 v73, a53
	;; [unrolled: 1-line block ×15, first 2 shown]
	ds_write_b128 v8, v[32:35] offset:256
.LBB0_13:
	s_or_b64 exec, exec, s[0:1]
	s_waitcnt lgkmcnt(0)
	s_barrier
	ds_read_b128 v[0:3], v26 offset:13328
	ds_read_b128 v[4:7], v26
	ds_read_b128 v[8:11], v26 offset:1904
	ds_read_b128 v[12:15], v26 offset:15232
	;; [unrolled: 1-line block ×12, first 2 shown]
	s_waitcnt lgkmcnt(13)
	v_mul_f64 v[24:25], v[206:207], v[2:3]
	v_fmac_f64_e32 v[24:25], v[204:205], v[0:1]
	v_mul_f64 v[0:1], v[206:207], v[0:1]
	v_fma_f64 v[2:3], v[204:205], v[2:3], -v[0:1]
	s_waitcnt lgkmcnt(10)
	v_mul_f64 v[0:1], v[202:203], v[12:13]
	v_mul_f64 v[36:37], v[202:203], v[14:15]
	v_fma_f64 v[14:15], v[200:201], v[14:15], -v[0:1]
	s_waitcnt lgkmcnt(9)
	v_mul_f64 v[0:1], v[214:215], v[16:17]
	;; [unrolled: 4-line block ×5, first 2 shown]
	v_fmac_f64_e32 v[36:37], v[200:201], v[12:13]
	v_fmac_f64_e32 v[38:39], v[212:213], v[16:17]
	;; [unrolled: 1-line block ×3, first 2 shown]
	v_mul_f64 v[46:47], v[218:219], v[154:155]
	v_fma_f64 v[48:49], v[216:217], v[154:155], -v[0:1]
	s_waitcnt lgkmcnt(0)
	v_mul_f64 v[50:51], v[226:227], v[158:159]
	v_mul_f64 v[0:1], v[226:227], v[156:157]
	v_fmac_f64_e32 v[40:41], v[208:209], v[32:33]
	v_fmac_f64_e32 v[46:47], v[216:217], v[152:153]
	;; [unrolled: 1-line block ×3, first 2 shown]
	v_fma_f64 v[52:53], v[224:225], v[158:159], -v[0:1]
	v_add_f64 v[12:13], v[8:9], -v[36:37]
	v_add_f64 v[16:17], v[20:21], -v[38:39]
	;; [unrolled: 1-line block ×10, first 2 shown]
	v_fma_f64 v[136:137], v[140:141], 2.0, -v[36:37]
	v_fma_f64 v[138:139], v[142:143], 2.0, -v[38:39]
	v_add_f64 v[140:141], v[144:145], -v[46:47]
	v_add_f64 v[142:143], v[146:147], -v[48:49]
	;; [unrolled: 1-line block ×4, first 2 shown]
	v_fma_f64 v[4:5], v[4:5], 2.0, -v[0:1]
	v_fma_f64 v[6:7], v[6:7], 2.0, -v[2:3]
	;; [unrolled: 1-line block ×12, first 2 shown]
	s_barrier
	ds_write_b128 v76, v[4:7]
	ds_write_b128 v76, v[0:3] offset:272
	ds_write_b128 v77, v[8:11]
	ds_write_b128 v77, v[12:15] offset:272
	;; [unrolled: 2-line block ×7, first 2 shown]
	s_waitcnt lgkmcnt(0)
	s_barrier
	ds_read_b128 v[4:7], v26
	ds_read_b128 v[0:3], v26 offset:1904
	ds_read_b128 v[8:11], v26 offset:3808
	;; [unrolled: 1-line block ×13, first 2 shown]
	s_waitcnt lgkmcnt(11)
	v_mul_f64 v[24:25], v[70:71], v[10:11]
	v_fmac_f64_e32 v[24:25], v[68:69], v[8:9]
	v_mul_f64 v[8:9], v[70:71], v[8:9]
	v_fma_f64 v[8:9], v[68:69], v[10:11], -v[8:9]
	s_waitcnt lgkmcnt(9)
	v_mul_f64 v[10:11], v[66:67], v[18:19]
	v_fmac_f64_e32 v[10:11], v[64:65], v[16:17]
	v_mul_f64 v[16:17], v[66:67], v[16:17]
	v_fma_f64 v[16:17], v[64:65], v[18:19], -v[16:17]
	s_waitcnt lgkmcnt(7)
	v_mul_f64 v[18:19], v[62:63], v[30:31]
	v_mul_f64 v[46:47], v[250:251], v[14:15]
	v_fmac_f64_e32 v[18:19], v[60:61], v[28:29]
	v_mul_f64 v[28:29], v[62:63], v[28:29]
	v_fmac_f64_e32 v[46:47], v[248:249], v[12:13]
	v_mul_f64 v[12:13], v[250:251], v[12:13]
	v_fma_f64 v[28:29], v[60:61], v[30:31], -v[28:29]
	s_waitcnt lgkmcnt(5)
	v_mul_f64 v[30:31], v[58:59], v[38:39]
	v_fma_f64 v[48:49], v[248:249], v[14:15], -v[12:13]
	v_mul_f64 v[12:13], v[242:243], v[20:21]
	v_fmac_f64_e32 v[30:31], v[56:57], v[36:37]
	v_mul_f64 v[36:37], v[58:59], v[36:37]
	v_fma_f64 v[52:53], v[240:241], v[22:23], -v[12:13]
	v_mul_f64 v[12:13], v[238:239], v[32:33]
	v_fma_f64 v[36:37], v[56:57], v[38:39], -v[36:37]
	v_fma_f64 v[56:57], v[236:237], v[34:35], -v[12:13]
	s_waitcnt lgkmcnt(4)
	v_mul_f64 v[12:13], v[234:235], v[136:137]
	s_waitcnt lgkmcnt(3)
	v_mul_f64 v[38:39], v[230:231], v[142:143]
	;; [unrolled: 2-line block ×3, first 2 shown]
	v_fma_f64 v[60:61], v[232:233], v[138:139], -v[12:13]
	v_mul_f64 v[12:13], v[86:87], v[144:145]
	v_fmac_f64_e32 v[38:39], v[228:229], v[140:141]
	v_mul_f64 v[40:41], v[230:231], v[140:141]
	v_fmac_f64_e32 v[42:43], v[72:73], v[148:149]
	v_mul_f64 v[44:45], v[74:75], v[148:149]
	v_fma_f64 v[64:65], v[84:85], v[146:147], -v[12:13]
	s_waitcnt lgkmcnt(0)
	v_mul_f64 v[12:13], v[254:255], v[152:153]
	v_fma_f64 v[40:41], v[228:229], v[142:143], -v[40:41]
	v_fma_f64 v[44:45], v[72:73], v[150:151], -v[44:45]
	v_mul_f64 v[50:51], v[242:243], v[22:23]
	v_mul_f64 v[54:55], v[238:239], v[34:35]
	v_fma_f64 v[68:69], v[252:253], v[154:155], -v[12:13]
	v_add_f64 v[12:13], v[24:25], v[42:43]
	v_add_f64 v[22:23], v[10:11], v[38:39]
	v_fmac_f64_e32 v[50:51], v[240:241], v[20:21]
	v_fmac_f64_e32 v[54:55], v[236:237], v[32:33]
	v_add_f64 v[14:15], v[8:9], v[44:45]
	v_add_f64 v[20:21], v[24:25], -v[42:43]
	v_add_f64 v[24:25], v[16:17], v[40:41]
	v_add_f64 v[32:33], v[18:19], v[30:31]
	v_add_f64 v[18:19], v[30:31], -v[18:19]
	v_add_f64 v[30:31], v[22:23], v[12:13]
	;; [unrolled: 3-line block ×3, first 2 shown]
	v_add_f64 v[30:31], v[32:33], v[30:31]
	v_add_f64 v[10:11], v[10:11], -v[38:39]
	v_add_f64 v[38:39], v[22:23], -v[12:13]
	;; [unrolled: 1-line block ×4, first 2 shown]
	v_add_f64 v[32:33], v[34:35], v[36:37]
	v_add_f64 v[4:5], v[4:5], v[30:31]
	s_mov_b32 s10, 0x37e14327
	s_mov_b32 s0, 0x36b3c0b5
	;; [unrolled: 1-line block ×4, first 2 shown]
	v_add_f64 v[8:9], v[8:9], -v[44:45]
	v_add_f64 v[16:17], v[16:17], -v[40:41]
	;; [unrolled: 1-line block ×5, first 2 shown]
	v_add_f64 v[42:43], v[18:19], v[10:11]
	v_add_f64 v[70:71], v[18:19], -v[10:11]
	v_add_f64 v[6:7], v[6:7], v[32:33]
	s_mov_b32 s11, 0x3fe948f6
	s_mov_b32 s1, 0x3fac98ee
	;; [unrolled: 1-line block ×5, first 2 shown]
	v_mov_b64_e32 v[74:75], v[4:5]
	s_mov_b32 s20, 0x5476071b
	s_mov_b32 s24, 0xb247c609
	v_add_f64 v[44:45], v[28:29], v[16:17]
	v_add_f64 v[72:73], v[28:29], -v[16:17]
	v_add_f64 v[18:19], v[20:21], -v[18:19]
	;; [unrolled: 1-line block ×4, first 2 shown]
	v_add_f64 v[20:21], v[42:43], v[20:21]
	v_mul_f64 v[12:13], v[12:13], s[10:11]
	v_mul_f64 v[14:15], v[14:15], s[10:11]
	;; [unrolled: 1-line block ×5, first 2 shown]
	s_mov_b32 s15, 0xbfebfeb5
	v_fmac_f64_e32 v[74:75], s[18:19], v[30:31]
	v_mov_b64_e32 v[30:31], v[6:7]
	s_mov_b32 s21, 0x3fe77f67
	s_mov_b32 s23, 0xbfe77f67
	;; [unrolled: 1-line block ×5, first 2 shown]
	v_mul_f64 v[62:63], v[86:87], v[146:147]
	v_mul_f64 v[66:67], v[254:255], v[154:155]
	v_add_f64 v[28:29], v[8:9], -v[28:29]
	v_add_f64 v[8:9], v[44:45], v[8:9]
	v_mul_f64 v[44:45], v[72:73], s[16:17]
	v_mul_f64 v[72:73], v[16:17], s[14:15]
	v_fmac_f64_e32 v[30:31], s[18:19], v[32:33]
	v_fma_f64 v[32:33], v[38:39], s[20:21], -v[34:35]
	v_fma_f64 v[34:35], v[40:41], s[20:21], -v[36:37]
	;; [unrolled: 1-line block ×3, first 2 shown]
	v_fmac_f64_e32 v[12:13], s[0:1], v[22:23]
	v_fma_f64 v[22:23], v[40:41], s[22:23], -v[14:15]
	v_fmac_f64_e32 v[14:15], s[0:1], v[24:25]
	v_fma_f64 v[24:25], v[10:11], s[14:15], -v[42:43]
	v_fmac_f64_e32 v[42:43], s[24:25], v[18:19]
	s_mov_b32 s29, 0x3fd5d0dc
	s_mov_b32 s28, s24
	;; [unrolled: 1-line block ×3, first 2 shown]
	v_mul_f64 v[58:59], v[234:235], v[138:139]
	v_fmac_f64_e32 v[62:63], v[84:85], v[144:145]
	v_fmac_f64_e32 v[66:67], v[252:253], v[152:153]
	v_mul_f64 v[70:71], v[10:11], s[14:15]
	v_fma_f64 v[38:39], v[16:17], s[14:15], -v[44:45]
	v_fmac_f64_e32 v[44:45], s[24:25], v[28:29]
	v_fma_f64 v[28:29], v[28:29], s[28:29], -v[72:73]
	v_add_f64 v[72:73], v[14:15], v[30:31]
	v_add_f64 v[34:35], v[34:35], v[30:31]
	v_fmac_f64_e32 v[42:43], s[26:27], v[20:21]
	v_fmac_f64_e32 v[24:25], s[26:27], v[20:21]
	;; [unrolled: 1-line block ×3, first 2 shown]
	v_fma_f64 v[40:41], v[18:19], s[28:29], -v[70:71]
	v_add_f64 v[70:71], v[12:13], v[74:75]
	v_add_f64 v[32:33], v[32:33], v[74:75]
	;; [unrolled: 1-line block ×4, first 2 shown]
	v_fmac_f64_e32 v[44:45], s[26:27], v[8:9]
	v_fmac_f64_e32 v[38:39], s[26:27], v[8:9]
	;; [unrolled: 1-line block ×3, first 2 shown]
	v_add_f64 v[10:11], v[72:73], -v[42:43]
	v_add_f64 v[18:19], v[24:25], v[34:35]
	v_add_f64 v[22:23], v[34:35], -v[24:25]
	v_add_f64 v[34:35], v[42:43], v[72:73]
	v_add_f64 v[24:25], v[46:47], v[66:67]
	;; [unrolled: 1-line block ×3, first 2 shown]
	v_fmac_f64_e32 v[40:41], s[26:27], v[20:21]
	v_add_f64 v[8:9], v[44:45], v[70:71]
	v_add_f64 v[12:13], v[28:29], v[36:37]
	v_add_f64 v[16:17], v[32:33], -v[38:39]
	v_add_f64 v[20:21], v[38:39], v[32:33]
	v_add_f64 v[28:29], v[36:37], -v[28:29]
	v_add_f64 v[32:33], v[70:71], -v[44:45]
	v_add_f64 v[36:37], v[48:49], v[68:69]
	v_add_f64 v[38:39], v[46:47], -v[66:67]
	v_add_f64 v[44:45], v[52:53], v[64:65]
	;; [unrolled: 2-line block ×5, first 2 shown]
	v_add_f64 v[40:41], v[48:49], -v[68:69]
	v_add_f64 v[48:49], v[52:53], -v[64:65]
	v_add_f64 v[52:53], v[56:57], v[60:61]
	v_add_f64 v[56:57], v[60:61], -v[56:57]
	v_add_f64 v[60:61], v[44:45], v[36:37]
	v_add_f64 v[62:63], v[42:43], -v[24:25]
	v_add_f64 v[24:25], v[24:25], -v[50:51]
	;; [unrolled: 1-line block ×3, first 2 shown]
	v_add_f64 v[50:51], v[50:51], v[58:59]
	v_add_f64 v[64:65], v[44:45], -v[36:37]
	v_add_f64 v[36:37], v[36:37], -v[52:53]
	v_add_f64 v[44:45], v[52:53], -v[44:45]
	v_add_f64 v[52:53], v[52:53], v[60:61]
	v_add_f64 v[0:1], v[0:1], v[50:51]
	;; [unrolled: 1-line block ×4, first 2 shown]
	v_add_f64 v[70:71], v[54:55], -v[46:47]
	v_add_f64 v[72:73], v[56:57], -v[48:49]
	;; [unrolled: 1-line block ×4, first 2 shown]
	v_add_f64 v[2:3], v[2:3], v[52:53]
	v_mov_b64_e32 v[74:75], v[0:1]
	v_add_f64 v[54:55], v[38:39], -v[54:55]
	v_add_f64 v[56:57], v[40:41], -v[56:57]
	v_add_f64 v[38:39], v[66:67], v[38:39]
	v_add_f64 v[40:41], v[68:69], v[40:41]
	v_mul_f64 v[24:25], v[24:25], s[10:11]
	v_mul_f64 v[36:37], v[36:37], s[10:11]
	;; [unrolled: 1-line block ×8, first 2 shown]
	v_fmac_f64_e32 v[74:75], s[18:19], v[50:51]
	v_mov_b64_e32 v[50:51], v[2:3]
	v_fmac_f64_e32 v[50:51], s[18:19], v[52:53]
	v_fma_f64 v[52:53], v[62:63], s[20:21], -v[58:59]
	v_fma_f64 v[58:59], v[64:65], s[20:21], -v[60:61]
	;; [unrolled: 1-line block ×3, first 2 shown]
	v_fmac_f64_e32 v[24:25], s[0:1], v[42:43]
	v_fma_f64 v[42:43], v[64:65], s[22:23], -v[36:37]
	v_fmac_f64_e32 v[36:37], s[0:1], v[44:45]
	v_fma_f64 v[62:63], v[46:47], s[14:15], -v[66:67]
	;; [unrolled: 2-line block ×4, first 2 shown]
	v_fma_f64 v[56:57], v[56:57], s[28:29], -v[72:73]
	v_add_f64 v[24:25], v[24:25], v[74:75]
	v_add_f64 v[64:65], v[36:37], v[50:51]
	;; [unrolled: 1-line block ×6, first 2 shown]
	v_fmac_f64_e32 v[66:67], s[26:27], v[38:39]
	v_fmac_f64_e32 v[68:69], s[26:27], v[40:41]
	;; [unrolled: 1-line block ×6, first 2 shown]
	v_add_f64 v[36:37], v[68:69], v[24:25]
	v_add_f64 v[38:39], v[64:65], -v[66:67]
	v_add_f64 v[40:41], v[56:57], v[60:61]
	v_add_f64 v[42:43], v[70:71], -v[54:55]
	v_add_f64 v[44:45], v[52:53], -v[48:49]
	v_add_f64 v[46:47], v[62:63], v[58:59]
	v_add_f64 v[48:49], v[48:49], v[52:53]
	v_add_f64 v[50:51], v[58:59], -v[62:63]
	v_add_f64 v[52:53], v[60:61], -v[56:57]
	v_add_f64 v[54:55], v[54:55], v[70:71]
	v_add_f64 v[56:57], v[24:25], -v[68:69]
	v_add_f64 v[58:59], v[66:67], v[64:65]
	s_barrier
	ds_write_b128 v81, v[4:7]
	ds_write_b128 v81, v[8:11] offset:544
	ds_write_b128 v81, v[12:15] offset:1088
	;; [unrolled: 1-line block ×6, first 2 shown]
	ds_write_b128 v82, v[0:3]
	ds_write_b128 v82, v[36:39] offset:544
	ds_write_b128 v82, v[40:43] offset:1088
	;; [unrolled: 1-line block ×6, first 2 shown]
	s_waitcnt lgkmcnt(0)
	s_barrier
	ds_read_b128 v[4:7], v26
	ds_read_b128 v[0:3], v26 offset:1904
	ds_read_b128 v[8:11], v26 offset:3808
	;; [unrolled: 1-line block ×13, first 2 shown]
	s_waitcnt lgkmcnt(11)
	v_mul_f64 v[24:25], v[102:103], v[10:11]
	v_fmac_f64_e32 v[24:25], v[100:101], v[8:9]
	v_mul_f64 v[8:9], v[102:103], v[8:9]
	v_fma_f64 v[8:9], v[100:101], v[10:11], -v[8:9]
	s_waitcnt lgkmcnt(9)
	v_mul_f64 v[10:11], v[98:99], v[18:19]
	v_fmac_f64_e32 v[10:11], v[96:97], v[16:17]
	v_mul_f64 v[16:17], v[98:99], v[16:17]
	v_fma_f64 v[16:17], v[96:97], v[18:19], -v[16:17]
	;; [unrolled: 5-line block ×6, first 2 shown]
	v_mul_f64 v[54:55], v[126:127], v[14:15]
	v_fmac_f64_e32 v[54:55], v[124:125], v[12:13]
	v_mul_f64 v[12:13], v[126:127], v[12:13]
	v_fma_f64 v[60:61], v[124:125], v[14:15], -v[12:13]
	v_mul_f64 v[12:13], v[122:123], v[20:21]
	v_fma_f64 v[64:65], v[120:121], v[22:23], -v[12:13]
	;; [unrolled: 2-line block ×3, first 2 shown]
	v_mul_f64 v[70:71], v[114:115], v[42:43]
	v_mul_f64 v[12:13], v[114:115], v[40:41]
	v_fmac_f64_e32 v[70:71], v[112:113], v[40:41]
	v_fma_f64 v[40:41], v[112:113], v[42:43], -v[12:13]
	v_mul_f64 v[42:43], v[134:135], v[50:51]
	v_mul_f64 v[12:13], v[134:135], v[48:49]
	v_fmac_f64_e32 v[42:43], v[132:133], v[48:49]
	v_fma_f64 v[48:49], v[132:133], v[50:51], -v[12:13]
	s_waitcnt lgkmcnt(0)
	v_mul_f64 v[50:51], v[130:131], v[58:59]
	v_mul_f64 v[12:13], v[130:131], v[56:57]
	;; [unrolled: 1-line block ×4, first 2 shown]
	v_fmac_f64_e32 v[50:51], v[128:129], v[56:57]
	v_fma_f64 v[56:57], v[128:129], v[58:59], -v[12:13]
	v_add_f64 v[12:13], v[24:25], v[46:47]
	v_add_f64 v[22:23], v[10:11], v[38:39]
	v_fmac_f64_e32 v[62:63], v[120:121], v[20:21]
	v_fmac_f64_e32 v[66:67], v[116:117], v[32:33]
	v_add_f64 v[14:15], v[8:9], v[52:53]
	v_add_f64 v[20:21], v[24:25], -v[46:47]
	v_add_f64 v[24:25], v[16:17], v[44:45]
	v_add_f64 v[32:33], v[18:19], v[30:31]
	v_add_f64 v[18:19], v[30:31], -v[18:19]
	v_add_f64 v[30:31], v[22:23], v[12:13]
	;; [unrolled: 3-line block ×3, first 2 shown]
	v_add_f64 v[30:31], v[32:33], v[30:31]
	v_add_f64 v[10:11], v[10:11], -v[38:39]
	v_add_f64 v[38:39], v[22:23], -v[12:13]
	;; [unrolled: 1-line block ×4, first 2 shown]
	v_add_f64 v[32:33], v[34:35], v[36:37]
	v_add_f64 v[4:5], v[4:5], v[30:31]
	v_add_f64 v[8:9], v[8:9], -v[52:53]
	v_add_f64 v[16:17], v[16:17], -v[44:45]
	v_add_f64 v[44:45], v[24:25], -v[14:15]
	v_add_f64 v[14:15], v[14:15], -v[34:35]
	v_add_f64 v[24:25], v[34:35], -v[24:25]
	v_add_f64 v[46:47], v[18:19], v[10:11]
	v_add_f64 v[58:59], v[18:19], -v[10:11]
	v_add_f64 v[6:7], v[6:7], v[32:33]
	v_mov_b64_e32 v[74:75], v[4:5]
	v_add_f64 v[52:53], v[28:29], v[16:17]
	v_add_f64 v[72:73], v[28:29], -v[16:17]
	v_add_f64 v[18:19], v[20:21], -v[18:19]
	;; [unrolled: 1-line block ×4, first 2 shown]
	v_add_f64 v[20:21], v[46:47], v[20:21]
	v_mul_f64 v[12:13], v[12:13], s[10:11]
	v_mul_f64 v[14:15], v[14:15], s[10:11]
	;; [unrolled: 1-line block ×5, first 2 shown]
	v_fmac_f64_e32 v[74:75], s[18:19], v[30:31]
	v_mov_b64_e32 v[30:31], v[6:7]
	v_add_f64 v[28:29], v[8:9], -v[28:29]
	v_add_f64 v[8:9], v[52:53], v[8:9]
	v_mul_f64 v[52:53], v[72:73], s[16:17]
	v_mul_f64 v[72:73], v[16:17], s[14:15]
	v_fmac_f64_e32 v[30:31], s[18:19], v[32:33]
	v_fma_f64 v[32:33], v[38:39], s[20:21], -v[34:35]
	v_fma_f64 v[34:35], v[44:45], s[20:21], -v[36:37]
	;; [unrolled: 1-line block ×3, first 2 shown]
	v_fmac_f64_e32 v[12:13], s[0:1], v[22:23]
	v_fma_f64 v[22:23], v[44:45], s[22:23], -v[14:15]
	v_fmac_f64_e32 v[14:15], s[0:1], v[24:25]
	v_fma_f64 v[24:25], v[10:11], s[14:15], -v[46:47]
	v_fmac_f64_e32 v[46:47], s[24:25], v[18:19]
	v_mul_f64 v[58:59], v[10:11], s[14:15]
	v_fma_f64 v[38:39], v[16:17], s[14:15], -v[52:53]
	v_fmac_f64_e32 v[52:53], s[24:25], v[28:29]
	v_fma_f64 v[28:29], v[28:29], s[28:29], -v[72:73]
	v_add_f64 v[72:73], v[14:15], v[30:31]
	v_add_f64 v[34:35], v[34:35], v[30:31]
	v_fmac_f64_e32 v[46:47], s[26:27], v[20:21]
	v_fmac_f64_e32 v[24:25], s[26:27], v[20:21]
	v_fma_f64 v[44:45], v[18:19], s[28:29], -v[58:59]
	v_add_f64 v[58:59], v[12:13], v[74:75]
	v_add_f64 v[32:33], v[32:33], v[74:75]
	;; [unrolled: 1-line block ×4, first 2 shown]
	v_fmac_f64_e32 v[52:53], s[26:27], v[8:9]
	v_fmac_f64_e32 v[38:39], s[26:27], v[8:9]
	;; [unrolled: 1-line block ×3, first 2 shown]
	v_add_f64 v[10:11], v[72:73], -v[46:47]
	v_add_f64 v[18:19], v[24:25], v[34:35]
	v_add_f64 v[22:23], v[34:35], -v[24:25]
	v_add_f64 v[34:35], v[46:47], v[72:73]
	v_add_f64 v[24:25], v[54:55], v[50:51]
	;; [unrolled: 1-line block ×3, first 2 shown]
	v_fmac_f64_e32 v[44:45], s[26:27], v[20:21]
	v_add_f64 v[8:9], v[52:53], v[58:59]
	v_add_f64 v[12:13], v[28:29], v[36:37]
	v_add_f64 v[16:17], v[32:33], -v[38:39]
	v_add_f64 v[20:21], v[38:39], v[32:33]
	v_add_f64 v[28:29], v[36:37], -v[28:29]
	v_add_f64 v[32:33], v[58:59], -v[52:53]
	v_add_f64 v[36:37], v[60:61], v[56:57]
	v_add_f64 v[38:39], v[54:55], -v[50:51]
	v_add_f64 v[50:51], v[64:65], v[48:49]
	v_add_f64 v[52:53], v[66:67], v[70:71]
	;; [unrolled: 1-line block ×3, first 2 shown]
	v_add_f64 v[14:15], v[30:31], -v[44:45]
	v_add_f64 v[30:31], v[44:45], v[30:31]
	v_add_f64 v[44:45], v[60:61], -v[56:57]
	v_add_f64 v[42:43], v[62:63], -v[42:43]
	v_add_f64 v[54:55], v[68:69], v[40:41]
	v_add_f64 v[60:61], v[50:51], v[36:37]
	v_add_f64 v[62:63], v[46:47], -v[24:25]
	v_add_f64 v[24:25], v[24:25], -v[52:53]
	;; [unrolled: 1-line block ×3, first 2 shown]
	v_add_f64 v[52:53], v[52:53], v[58:59]
	v_add_f64 v[48:49], v[64:65], -v[48:49]
	v_add_f64 v[56:57], v[70:71], -v[66:67]
	;; [unrolled: 1-line block ×6, first 2 shown]
	v_add_f64 v[54:55], v[54:55], v[60:61]
	v_add_f64 v[0:1], v[0:1], v[52:53]
	;; [unrolled: 1-line block ×4, first 2 shown]
	v_add_f64 v[70:71], v[56:57], -v[42:43]
	v_add_f64 v[72:73], v[40:41], -v[48:49]
	;; [unrolled: 1-line block ×4, first 2 shown]
	v_add_f64 v[2:3], v[2:3], v[54:55]
	v_mov_b64_e32 v[74:75], v[0:1]
	v_add_f64 v[56:57], v[38:39], -v[56:57]
	v_add_f64 v[40:41], v[44:45], -v[40:41]
	v_add_f64 v[38:39], v[66:67], v[38:39]
	v_add_f64 v[44:45], v[68:69], v[44:45]
	v_mul_f64 v[24:25], v[24:25], s[10:11]
	v_mul_f64 v[36:37], v[36:37], s[10:11]
	;; [unrolled: 1-line block ×8, first 2 shown]
	v_fmac_f64_e32 v[74:75], s[18:19], v[52:53]
	v_mov_b64_e32 v[52:53], v[2:3]
	v_fmac_f64_e32 v[52:53], s[18:19], v[54:55]
	v_fma_f64 v[46:47], s[0:1], v[46:47], v[24:25]
	v_fma_f64 v[54:55], v[62:63], s[20:21], -v[58:59]
	v_fma_f64 v[58:59], v[64:65], s[20:21], -v[60:61]
	;; [unrolled: 1-line block ×4, first 2 shown]
	v_fmac_f64_e32 v[36:37], s[0:1], v[50:51]
	v_fma_f64 v[62:63], s[24:25], v[56:57], v[66:67]
	v_fma_f64 v[50:51], v[42:43], s[14:15], -v[66:67]
	v_fma_f64 v[48:49], v[48:49], s[14:15], -v[68:69]
	v_fmac_f64_e32 v[68:69], s[24:25], v[40:41]
	v_fma_f64 v[56:57], v[56:57], s[28:29], -v[70:71]
	v_fma_f64 v[64:65], v[40:41], s[28:29], -v[72:73]
	v_add_f64 v[66:67], v[46:47], v[74:75]
	v_add_f64 v[70:71], v[36:37], v[52:53]
	;; [unrolled: 1-line block ×6, first 2 shown]
	v_fmac_f64_e32 v[62:63], s[26:27], v[38:39]
	v_fmac_f64_e32 v[68:69], s[26:27], v[44:45]
	;; [unrolled: 1-line block ×6, first 2 shown]
	v_add_f64 v[36:37], v[68:69], v[66:67]
	v_add_f64 v[38:39], v[70:71], -v[62:63]
	v_add_f64 v[40:41], v[64:65], v[24:25]
	v_add_f64 v[42:43], v[60:61], -v[56:57]
	v_add_f64 v[44:45], v[54:55], -v[48:49]
	v_add_f64 v[46:47], v[50:51], v[58:59]
	v_add_f64 v[48:49], v[48:49], v[54:55]
	v_add_f64 v[50:51], v[58:59], -v[50:51]
	v_add_f64 v[52:53], v[24:25], -v[64:65]
	v_add_f64 v[54:55], v[56:57], v[60:61]
	v_add_f64 v[56:57], v[66:67], -v[68:69]
	v_add_f64 v[58:59], v[62:63], v[70:71]
	ds_write_b128 v26, v[4:7]
	ds_write_b128 v26, v[8:11] offset:3808
	ds_write_b128 v26, v[12:15] offset:7616
	;; [unrolled: 1-line block ×13, first 2 shown]
	s_waitcnt lgkmcnt(0)
	s_barrier
	s_and_b64 exec, exec, s[2:3]
	s_cbranch_execz .LBB0_15
; %bb.14:
	global_load_dwordx4 v[0:3], v244, s[8:9]
	v_accvgpr_read_b32 v18, a2
	v_mad_u64_u32 v[10:11], s[0:1], s6, v18, 0
	ds_read_b128 v[4:7], v26
	v_mad_u64_u32 v[12:13], s[2:3], s4, v246, 0
	v_mov_b32_e32 v14, v11
	v_mov_b32_e32 v16, v13
	v_mad_u64_u32 v[14:15], s[2:3], s7, v18, v[14:15]
	v_mov_b32_e32 v8, s12
	v_mov_b32_e32 v9, s13
	;; [unrolled: 3-line block ×3, first 2 shown]
	v_lshl_add_u64 v[8:9], v[10:11], 4, v[8:9]
	s_mov_b32 s0, 0xca869b81
	v_lshl_add_u64 v[16:17], v[12:13], 4, v[8:9]
	s_mov_b32 s1, 0x3f43ab2d
	s_mul_i32 s2, s5, 0x620
	v_mov_b32_e32 v245, 0
	s_movk_i32 s3, 0x1000
	s_waitcnt vmcnt(0) lgkmcnt(0)
	v_mul_f64 v[8:9], v[6:7], v[2:3]
	v_mul_f64 v[2:3], v[4:5], v[2:3]
	v_fmac_f64_e32 v[8:9], v[4:5], v[0:1]
	v_fma_f64 v[2:3], v[0:1], v[6:7], -v[2:3]
	v_mul_f64 v[0:1], v[8:9], s[0:1]
	v_mul_f64 v[2:3], v[2:3], s[0:1]
	global_store_dwordx4 v[16:17], v[0:3], off
	global_load_dwordx4 v[4:7], v244, s[8:9] offset:1568
	ds_read_b128 v[8:11], v27 offset:1568
	ds_read_b128 v[12:15], v27 offset:3136
	v_mov_b32_e32 v2, 0x620
	v_mad_u64_u32 v[16:17], s[6:7], s4, v2, v[16:17]
	v_add_u32_e32 v17, s2, v17
	s_waitcnt vmcnt(0) lgkmcnt(1)
	v_mul_f64 v[0:1], v[10:11], v[6:7]
	v_mul_f64 v[6:7], v[8:9], v[6:7]
	v_fmac_f64_e32 v[0:1], v[8:9], v[4:5]
	v_fma_f64 v[6:7], v[4:5], v[10:11], -v[6:7]
	v_mul_f64 v[4:5], v[0:1], s[0:1]
	v_mul_f64 v[6:7], v[6:7], s[0:1]
	global_store_dwordx4 v[16:17], v[4:7], off
	global_load_dwordx4 v[4:7], v244, s[8:9] offset:3136
	v_lshl_add_u64 v[0:1], s[8:9], 0, v[244:245]
	v_mad_u64_u32 v[16:17], s[6:7], s4, v2, v[16:17]
	v_add_co_u32_e32 v18, vcc, s3, v0
	v_add_u32_e32 v17, s2, v17
	s_nop 0
	v_addc_co_u32_e32 v19, vcc, 0, v1, vcc
	s_movk_i32 s3, 0x2000
	s_waitcnt vmcnt(0) lgkmcnt(0)
	v_mul_f64 v[8:9], v[14:15], v[6:7]
	v_mul_f64 v[6:7], v[12:13], v[6:7]
	v_fmac_f64_e32 v[8:9], v[12:13], v[4:5]
	v_fma_f64 v[6:7], v[4:5], v[14:15], -v[6:7]
	v_mul_f64 v[4:5], v[8:9], s[0:1]
	v_mul_f64 v[6:7], v[6:7], s[0:1]
	global_store_dwordx4 v[16:17], v[4:7], off
	global_load_dwordx4 v[4:7], v[18:19], off offset:608
	ds_read_b128 v[8:11], v27 offset:4704
	ds_read_b128 v[12:15], v27 offset:6272
	v_mad_u64_u32 v[16:17], s[6:7], s4, v2, v[16:17]
	v_add_u32_e32 v17, s2, v17
	s_waitcnt vmcnt(0) lgkmcnt(1)
	v_mul_f64 v[20:21], v[10:11], v[6:7]
	v_mul_f64 v[6:7], v[8:9], v[6:7]
	v_fmac_f64_e32 v[20:21], v[8:9], v[4:5]
	v_fma_f64 v[6:7], v[4:5], v[10:11], -v[6:7]
	v_mul_f64 v[4:5], v[20:21], s[0:1]
	v_mul_f64 v[6:7], v[6:7], s[0:1]
	global_store_dwordx4 v[16:17], v[4:7], off
	global_load_dwordx4 v[4:7], v[18:19], off offset:2176
	v_mad_u64_u32 v[16:17], s[6:7], s4, v2, v[16:17]
	v_add_u32_e32 v17, s2, v17
	s_waitcnt vmcnt(0) lgkmcnt(0)
	v_mul_f64 v[8:9], v[14:15], v[6:7]
	v_mul_f64 v[6:7], v[12:13], v[6:7]
	v_fmac_f64_e32 v[8:9], v[12:13], v[4:5]
	v_fma_f64 v[6:7], v[4:5], v[14:15], -v[6:7]
	v_mul_f64 v[4:5], v[8:9], s[0:1]
	v_mul_f64 v[6:7], v[6:7], s[0:1]
	global_store_dwordx4 v[16:17], v[4:7], off
	global_load_dwordx4 v[4:7], v[18:19], off offset:3744
	ds_read_b128 v[8:11], v27 offset:7840
	ds_read_b128 v[12:15], v27 offset:9408
	v_mad_u64_u32 v[16:17], s[6:7], s4, v2, v[16:17]
	v_add_co_u32_e32 v18, vcc, s3, v0
	v_add_u32_e32 v17, s2, v17
	s_nop 0
	v_addc_co_u32_e32 v19, vcc, 0, v1, vcc
	s_movk_i32 s3, 0x3000
	s_waitcnt vmcnt(0) lgkmcnt(1)
	v_mul_f64 v[20:21], v[10:11], v[6:7]
	v_mul_f64 v[6:7], v[8:9], v[6:7]
	v_fmac_f64_e32 v[20:21], v[8:9], v[4:5]
	v_fma_f64 v[6:7], v[4:5], v[10:11], -v[6:7]
	v_mul_f64 v[4:5], v[20:21], s[0:1]
	v_mul_f64 v[6:7], v[6:7], s[0:1]
	global_store_dwordx4 v[16:17], v[4:7], off
	global_load_dwordx4 v[4:7], v[18:19], off offset:1216
	v_mad_u64_u32 v[16:17], s[6:7], s4, v2, v[16:17]
	v_add_u32_e32 v17, s2, v17
	s_waitcnt vmcnt(0) lgkmcnt(0)
	v_mul_f64 v[8:9], v[14:15], v[6:7]
	v_mul_f64 v[6:7], v[12:13], v[6:7]
	v_fmac_f64_e32 v[8:9], v[12:13], v[4:5]
	v_fma_f64 v[6:7], v[4:5], v[14:15], -v[6:7]
	v_mul_f64 v[4:5], v[8:9], s[0:1]
	v_mul_f64 v[6:7], v[6:7], s[0:1]
	global_store_dwordx4 v[16:17], v[4:7], off
	global_load_dwordx4 v[4:7], v[18:19], off offset:2784
	ds_read_b128 v[8:11], v27 offset:10976
	ds_read_b128 v[12:15], v27 offset:12544
	v_mad_u64_u32 v[16:17], s[6:7], s4, v2, v[16:17]
	v_add_co_u32_e32 v18, vcc, s3, v0
	v_add_u32_e32 v17, s2, v17
	s_nop 0
	v_addc_co_u32_e32 v19, vcc, 0, v1, vcc
	s_movk_i32 s3, 0x4000
	s_waitcnt vmcnt(0) lgkmcnt(1)
	v_mul_f64 v[20:21], v[10:11], v[6:7]
	v_mul_f64 v[6:7], v[8:9], v[6:7]
	v_fmac_f64_e32 v[20:21], v[8:9], v[4:5]
	v_fma_f64 v[6:7], v[4:5], v[10:11], -v[6:7]
	v_mul_f64 v[4:5], v[20:21], s[0:1]
	v_mul_f64 v[6:7], v[6:7], s[0:1]
	global_store_dwordx4 v[16:17], v[4:7], off
	global_load_dwordx4 v[4:7], v[18:19], off offset:256
	v_mad_u64_u32 v[16:17], s[6:7], s4, v2, v[16:17]
	v_add_u32_e32 v17, s2, v17
	s_waitcnt vmcnt(0) lgkmcnt(0)
	v_mul_f64 v[8:9], v[14:15], v[6:7]
	v_mul_f64 v[6:7], v[12:13], v[6:7]
	v_fmac_f64_e32 v[8:9], v[12:13], v[4:5]
	v_fma_f64 v[6:7], v[4:5], v[14:15], -v[6:7]
	v_mul_f64 v[4:5], v[8:9], s[0:1]
	v_mul_f64 v[6:7], v[6:7], s[0:1]
	global_store_dwordx4 v[16:17], v[4:7], off
	global_load_dwordx4 v[4:7], v[18:19], off offset:1824
	ds_read_b128 v[8:11], v27 offset:14112
	ds_read_b128 v[12:15], v27 offset:15680
	v_mad_u64_u32 v[16:17], s[6:7], s4, v2, v[16:17]
	v_add_u32_e32 v17, s2, v17
	s_waitcnt vmcnt(0) lgkmcnt(1)
	v_mul_f64 v[20:21], v[10:11], v[6:7]
	v_mul_f64 v[6:7], v[8:9], v[6:7]
	v_fmac_f64_e32 v[20:21], v[8:9], v[4:5]
	v_fma_f64 v[6:7], v[4:5], v[10:11], -v[6:7]
	v_mul_f64 v[4:5], v[20:21], s[0:1]
	v_mul_f64 v[6:7], v[6:7], s[0:1]
	global_store_dwordx4 v[16:17], v[4:7], off
	global_load_dwordx4 v[4:7], v[18:19], off offset:3392
	v_mad_u64_u32 v[16:17], s[6:7], s4, v2, v[16:17]
	v_add_co_u32_e32 v18, vcc, s3, v0
	v_add_u32_e32 v17, s2, v17
	s_nop 0
	v_addc_co_u32_e32 v19, vcc, 0, v1, vcc
	s_movk_i32 s3, 0x5000
	s_waitcnt vmcnt(0) lgkmcnt(0)
	v_mul_f64 v[8:9], v[14:15], v[6:7]
	v_mul_f64 v[6:7], v[12:13], v[6:7]
	v_fmac_f64_e32 v[8:9], v[12:13], v[4:5]
	v_fma_f64 v[6:7], v[4:5], v[14:15], -v[6:7]
	v_mul_f64 v[4:5], v[8:9], s[0:1]
	v_mul_f64 v[6:7], v[6:7], s[0:1]
	global_store_dwordx4 v[16:17], v[4:7], off
	global_load_dwordx4 v[4:7], v[18:19], off offset:864
	ds_read_b128 v[8:11], v27 offset:17248
	ds_read_b128 v[12:15], v27 offset:18816
	v_mad_u64_u32 v[16:17], s[6:7], s4, v2, v[16:17]
	v_add_u32_e32 v17, s2, v17
	s_waitcnt vmcnt(0) lgkmcnt(1)
	v_mul_f64 v[20:21], v[10:11], v[6:7]
	v_mul_f64 v[6:7], v[8:9], v[6:7]
	v_fmac_f64_e32 v[20:21], v[8:9], v[4:5]
	v_fma_f64 v[6:7], v[4:5], v[10:11], -v[6:7]
	v_mul_f64 v[4:5], v[20:21], s[0:1]
	v_mul_f64 v[6:7], v[6:7], s[0:1]
	global_store_dwordx4 v[16:17], v[4:7], off
	global_load_dwordx4 v[4:7], v[18:19], off offset:2432
	v_mad_u64_u32 v[16:17], s[6:7], s4, v2, v[16:17]
	v_add_u32_e32 v17, s2, v17
	s_waitcnt vmcnt(0) lgkmcnt(0)
	v_mul_f64 v[8:9], v[14:15], v[6:7]
	v_mul_f64 v[6:7], v[12:13], v[6:7]
	v_fmac_f64_e32 v[8:9], v[12:13], v[4:5]
	v_fma_f64 v[6:7], v[4:5], v[14:15], -v[6:7]
	v_mul_f64 v[4:5], v[8:9], s[0:1]
	v_mul_f64 v[6:7], v[6:7], s[0:1]
	global_store_dwordx4 v[16:17], v[4:7], off
	global_load_dwordx4 v[4:7], v[18:19], off offset:4000
	ds_read_b128 v[8:11], v27 offset:20384
	ds_read_b128 v[12:15], v27 offset:21952
	v_mad_u64_u32 v[16:17], s[6:7], s4, v2, v[16:17]
	v_add_co_u32_e32 v18, vcc, s3, v0
	v_add_u32_e32 v17, s2, v17
	s_nop 0
	v_addc_co_u32_e32 v19, vcc, 0, v1, vcc
	s_movk_i32 s3, 0x6000
	v_add_co_u32_e32 v0, vcc, s3, v0
	s_waitcnt vmcnt(0) lgkmcnt(1)
	v_mul_f64 v[20:21], v[10:11], v[6:7]
	v_mul_f64 v[6:7], v[8:9], v[6:7]
	v_fmac_f64_e32 v[20:21], v[8:9], v[4:5]
	v_fma_f64 v[6:7], v[4:5], v[10:11], -v[6:7]
	v_mul_f64 v[4:5], v[20:21], s[0:1]
	v_mul_f64 v[6:7], v[6:7], s[0:1]
	global_store_dwordx4 v[16:17], v[4:7], off
	global_load_dwordx4 v[4:7], v[18:19], off offset:1472
	v_mad_u64_u32 v[16:17], s[6:7], s4, v2, v[16:17]
	v_add_u32_e32 v17, s2, v17
	v_addc_co_u32_e32 v1, vcc, 0, v1, vcc
	s_waitcnt vmcnt(0) lgkmcnt(0)
	v_mul_f64 v[8:9], v[14:15], v[6:7]
	v_mul_f64 v[6:7], v[12:13], v[6:7]
	v_fmac_f64_e32 v[8:9], v[12:13], v[4:5]
	v_fma_f64 v[6:7], v[4:5], v[14:15], -v[6:7]
	v_mul_f64 v[4:5], v[8:9], s[0:1]
	v_mul_f64 v[6:7], v[6:7], s[0:1]
	global_store_dwordx4 v[16:17], v[4:7], off
	global_load_dwordx4 v[4:7], v[18:19], off offset:3040
	ds_read_b128 v[8:11], v27 offset:23520
	ds_read_b128 v[12:15], v27 offset:25088
	v_mad_u64_u32 v[16:17], s[6:7], s4, v2, v[16:17]
	v_add_u32_e32 v17, s2, v17
	s_waitcnt vmcnt(0) lgkmcnt(1)
	v_mul_f64 v[18:19], v[10:11], v[6:7]
	v_mul_f64 v[6:7], v[8:9], v[6:7]
	v_fmac_f64_e32 v[18:19], v[8:9], v[4:5]
	v_fma_f64 v[6:7], v[4:5], v[10:11], -v[6:7]
	v_mul_f64 v[4:5], v[18:19], s[0:1]
	v_mul_f64 v[6:7], v[6:7], s[0:1]
	global_store_dwordx4 v[16:17], v[4:7], off
	global_load_dwordx4 v[4:7], v[0:1], off offset:512
	v_mad_u64_u32 v[8:9], s[4:5], s4, v2, v[16:17]
	v_add_u32_e32 v9, s2, v9
	s_waitcnt vmcnt(0) lgkmcnt(0)
	v_mul_f64 v[0:1], v[14:15], v[6:7]
	v_mul_f64 v[2:3], v[12:13], v[6:7]
	v_fmac_f64_e32 v[0:1], v[12:13], v[4:5]
	v_fma_f64 v[2:3], v[4:5], v[14:15], -v[2:3]
	v_mul_f64 v[0:1], v[0:1], s[0:1]
	v_mul_f64 v[2:3], v[2:3], s[0:1]
	global_store_dwordx4 v[8:9], v[0:3], off
.LBB0_15:
	s_endpgm
	.section	.rodata,"a",@progbits
	.p2align	6, 0x0
	.amdhsa_kernel bluestein_single_fwd_len1666_dim1_dp_op_CI_CI
		.amdhsa_group_segment_fixed_size 26656
		.amdhsa_private_segment_fixed_size 0
		.amdhsa_kernarg_size 104
		.amdhsa_user_sgpr_count 2
		.amdhsa_user_sgpr_dispatch_ptr 0
		.amdhsa_user_sgpr_queue_ptr 0
		.amdhsa_user_sgpr_kernarg_segment_ptr 1
		.amdhsa_user_sgpr_dispatch_id 0
		.amdhsa_user_sgpr_kernarg_preload_length 0
		.amdhsa_user_sgpr_kernarg_preload_offset 0
		.amdhsa_user_sgpr_private_segment_size 0
		.amdhsa_uses_dynamic_stack 0
		.amdhsa_enable_private_segment 0
		.amdhsa_system_sgpr_workgroup_id_x 1
		.amdhsa_system_sgpr_workgroup_id_y 0
		.amdhsa_system_sgpr_workgroup_id_z 0
		.amdhsa_system_sgpr_workgroup_info 0
		.amdhsa_system_vgpr_workitem_id 0
		.amdhsa_next_free_vgpr 370
		.amdhsa_next_free_sgpr 62
		.amdhsa_accum_offset 256
		.amdhsa_reserve_vcc 1
		.amdhsa_float_round_mode_32 0
		.amdhsa_float_round_mode_16_64 0
		.amdhsa_float_denorm_mode_32 3
		.amdhsa_float_denorm_mode_16_64 3
		.amdhsa_dx10_clamp 1
		.amdhsa_ieee_mode 1
		.amdhsa_fp16_overflow 0
		.amdhsa_tg_split 0
		.amdhsa_exception_fp_ieee_invalid_op 0
		.amdhsa_exception_fp_denorm_src 0
		.amdhsa_exception_fp_ieee_div_zero 0
		.amdhsa_exception_fp_ieee_overflow 0
		.amdhsa_exception_fp_ieee_underflow 0
		.amdhsa_exception_fp_ieee_inexact 0
		.amdhsa_exception_int_div_zero 0
	.end_amdhsa_kernel
	.text
.Lfunc_end0:
	.size	bluestein_single_fwd_len1666_dim1_dp_op_CI_CI, .Lfunc_end0-bluestein_single_fwd_len1666_dim1_dp_op_CI_CI
                                        ; -- End function
	.section	.AMDGPU.csdata,"",@progbits
; Kernel info:
; codeLenInByte = 28880
; NumSgprs: 68
; NumVgprs: 256
; NumAgprs: 114
; TotalNumVgprs: 370
; ScratchSize: 0
; MemoryBound: 0
; FloatMode: 240
; IeeeMode: 1
; LDSByteSize: 26656 bytes/workgroup (compile time only)
; SGPRBlocks: 8
; VGPRBlocks: 46
; NumSGPRsForWavesPerEU: 68
; NumVGPRsForWavesPerEU: 370
; AccumOffset: 256
; Occupancy: 1
; WaveLimiterHint : 1
; COMPUTE_PGM_RSRC2:SCRATCH_EN: 0
; COMPUTE_PGM_RSRC2:USER_SGPR: 2
; COMPUTE_PGM_RSRC2:TRAP_HANDLER: 0
; COMPUTE_PGM_RSRC2:TGID_X_EN: 1
; COMPUTE_PGM_RSRC2:TGID_Y_EN: 0
; COMPUTE_PGM_RSRC2:TGID_Z_EN: 0
; COMPUTE_PGM_RSRC2:TIDIG_COMP_CNT: 0
; COMPUTE_PGM_RSRC3_GFX90A:ACCUM_OFFSET: 63
; COMPUTE_PGM_RSRC3_GFX90A:TG_SPLIT: 0
	.text
	.p2alignl 6, 3212836864
	.fill 256, 4, 3212836864
	.type	__hip_cuid_dcb8f3d459f51635,@object ; @__hip_cuid_dcb8f3d459f51635
	.section	.bss,"aw",@nobits
	.globl	__hip_cuid_dcb8f3d459f51635
__hip_cuid_dcb8f3d459f51635:
	.byte	0                               ; 0x0
	.size	__hip_cuid_dcb8f3d459f51635, 1

	.ident	"AMD clang version 19.0.0git (https://github.com/RadeonOpenCompute/llvm-project roc-6.4.0 25133 c7fe45cf4b819c5991fe208aaa96edf142730f1d)"
	.section	".note.GNU-stack","",@progbits
	.addrsig
	.addrsig_sym __hip_cuid_dcb8f3d459f51635
	.amdgpu_metadata
---
amdhsa.kernels:
  - .agpr_count:     114
    .args:
      - .actual_access:  read_only
        .address_space:  global
        .offset:         0
        .size:           8
        .value_kind:     global_buffer
      - .actual_access:  read_only
        .address_space:  global
        .offset:         8
        .size:           8
        .value_kind:     global_buffer
      - .actual_access:  read_only
        .address_space:  global
        .offset:         16
        .size:           8
        .value_kind:     global_buffer
      - .actual_access:  read_only
        .address_space:  global
        .offset:         24
        .size:           8
        .value_kind:     global_buffer
      - .actual_access:  read_only
        .address_space:  global
        .offset:         32
        .size:           8
        .value_kind:     global_buffer
      - .offset:         40
        .size:           8
        .value_kind:     by_value
      - .address_space:  global
        .offset:         48
        .size:           8
        .value_kind:     global_buffer
      - .address_space:  global
        .offset:         56
        .size:           8
        .value_kind:     global_buffer
      - .address_space:  global
        .offset:         64
        .size:           8
        .value_kind:     global_buffer
      - .address_space:  global
        .offset:         72
        .size:           8
        .value_kind:     global_buffer
      - .offset:         80
        .size:           4
        .value_kind:     by_value
      - .address_space:  global
        .offset:         88
        .size:           8
        .value_kind:     global_buffer
      - .address_space:  global
        .offset:         96
        .size:           8
        .value_kind:     global_buffer
    .group_segment_fixed_size: 26656
    .kernarg_segment_align: 8
    .kernarg_segment_size: 104
    .language:       OpenCL C
    .language_version:
      - 2
      - 0
    .max_flat_workgroup_size: 119
    .name:           bluestein_single_fwd_len1666_dim1_dp_op_CI_CI
    .private_segment_fixed_size: 0
    .sgpr_count:     68
    .sgpr_spill_count: 0
    .symbol:         bluestein_single_fwd_len1666_dim1_dp_op_CI_CI.kd
    .uniform_work_group_size: 1
    .uses_dynamic_stack: false
    .vgpr_count:     370
    .vgpr_spill_count: 0
    .wavefront_size: 64
amdhsa.target:   amdgcn-amd-amdhsa--gfx950
amdhsa.version:
  - 1
  - 2
...

	.end_amdgpu_metadata
